;; amdgpu-corpus repo=ROCm/aiter kind=harvested arch=n/a opt=n/a

/root/src/amdgpu-assembly/repos/ROCm__aiter/hsa/gfx942/fmoe/gelu/fmoe_fp16_pertokenInt8_g1u0_vs_gelu_1tg_ps_32x512.co:	file format elf64-amdgpu

Disassembly of section .text:

0000000000002e00 <_ZN5aiter49fmoe_fp16_pertokenInt8_g1u0_vs_gelu_1tg_ps_32x512E>:
	v_lshrrev_b32_e32 v1, 10, v0                               // 000000002E00: 2002008A
	v_lshrrev_b32_e32 v2, 10, v1                               // 000000002E04: 2004028A
	v_and_b32_e32 v2, 0x3ff, v2                                // 000000002E08: 260404FF 000003FF
	v_and_b32_e32 v1, 0x3ff, v1                                // 000000002E10: 260202FF 000003FF
	v_and_b32_e32 v0, 0x3ff, v0                                // 000000002E18: 260000FF 000003FF
	v_lshrrev_b32_e32 v3, 6, v0                                // 000000002E20: 20060086
	v_and_b32_e32 v0, 63, v0                                   // 000000002E24: 260000BF
	s_mov_b32 s2, s2                                           // 000000002E28: BE820002
	s_mov_b32 s3, s3                                           // 000000002E2C: BE830003
	s_mov_b32 s4, s4                                           // 000000002E30: BE840004
	s_mov_b32 s99, s2                                          // 000000002E34: BEE30002
	v_readfirstlane_b32 s7, v3                                 // 000000002E38: 7E0E0503
	s_and_b32 s1, s1, 0xffff                                   // 000000002E3C: 8601FF01 0000FFFF
	s_mov_b32 s96, 0                                           // 000000002E44: BEE00080
	s_mov_b32 s97, 0                                           // 000000002E48: BEE10080
	s_mov_b32 s100, 0                                          // 000000002E4C: BEE40080
	s_load_dword s96, s[0:1], 0x1a0                            // 000000002E50: C0021800 000001A0
	s_load_dword s97, s[0:1], 0x1b0                            // 000000002E58: C0021840 000001B0
	s_waitcnt lgkmcnt(0)                                       // 000000002E60: BF8CC07F
	s_cmp_eq_u32 s96, 0                                        // 000000002E64: BF068060
	s_cbranch_scc1 label_005C                                  // 000000002E68: BF850041
	v_cvt_f32_u32_e32 v50, s97                                 // 000000002E6C: 7E640C61
	s_sub_i32 s60, 0, s97                                      // 000000002E70: 81BC6180
	v_rcp_iflag_f32_e32 v50, v50                               // 000000002E74: 7E644732
	s_nop 0                                                    // 000000002E78: BF800000
	v_mul_f32_e32 v50, 0x4f7ffffe, v50                         // 000000002E7C: 0A6464FF 4F7FFFFE
	v_cvt_u32_f32_e32 v50, v50                                 // 000000002E84: 7E640F32
	v_mul_lo_u32 v51, s60, v50                                 // 000000002E88: D2850033 0002643C
	v_mul_hi_u32 v51, v50, v51                                 // 000000002E90: D2860033 00026732
	v_add_u32_e32 v50, v50, v51                                // 000000002E98: 68646732
	v_mul_hi_u32 v50, s96, v50                                 // 000000002E9C: D2860032 00026460
	v_mul_lo_u32 v51, v50, s97                                 // 000000002EA4: D2850033 0000C332
	v_sub_u32_e32 v53, s96, v51                                // 000000002EAC: 6A6A6660
	v_add_u32_e32 v52, 1, v50                                  // 000000002EB0: 68686481
	v_cmp_le_u32_e32 vcc, s97, v53                             // 000000002EB4: 7D966A61
	v_subrev_u32_e32 v51, s97, v53                             // 000000002EB8: 6C666A61
	s_nop 0                                                    // 000000002EBC: BF800000
	v_cndmask_b32_e32 v50, v50, v52, vcc                       // 000000002EC0: 00646932
	v_cndmask_b32_e32 v53, v53, v51, vcc                       // 000000002EC4: 006A6735
	v_add_u32_e32 v51, 1, v50                                  // 000000002EC8: 68666481
	v_cmp_le_u32_e32 vcc, s97, v53                             // 000000002ECC: 7D966A61
	s_nop 1                                                    // 000000002ED0: BF800001
	v_cndmask_b32_e32 v53, v50, v51, vcc                       // 000000002ED4: 006A6732
	s_nop 3                                                    // 000000002ED8: BF800003
	v_readfirstlane_b32 s98, v53                               // 000000002EDC: 7EC40535
	s_nop 3                                                    // 000000002EE0: BF800003

0000000000002ee4 <label_0039>:
	s_mov_b32 s4, 0                                            // 000000002EE4: BE840080
	v_cvt_f32_u32_e32 v50, s97                                 // 000000002EE8: 7E640C61
	s_sub_i32 s60, 0, s97                                      // 000000002EEC: 81BC6180
	v_rcp_iflag_f32_e32 v50, v50                               // 000000002EF0: 7E644732
	s_nop 0                                                    // 000000002EF4: BF800000
	v_mul_f32_e32 v50, 0x4f7ffffe, v50                         // 000000002EF8: 0A6464FF 4F7FFFFE
	v_cvt_u32_f32_e32 v50, v50                                 // 000000002F00: 7E640F32
	v_mul_lo_u32 v51, s60, v50                                 // 000000002F04: D2850033 0002643C
	v_mul_hi_u32 v51, v50, v51                                 // 000000002F0C: D2860033 00026732
	v_add_u32_e32 v50, v50, v51                                // 000000002F14: 68646732
	v_mul_hi_u32 v50, s99, v50                                 // 000000002F18: D2860032 00026463
	v_mul_lo_u32 v51, v50, s97                                 // 000000002F20: D2850033 0000C332
	v_sub_u32_e32 v53, s99, v51                                // 000000002F28: 6A6A6663
	v_add_u32_e32 v52, 1, v50                                  // 000000002F2C: 68686481
	v_cmp_le_u32_e32 vcc, s97, v53                             // 000000002F30: 7D966A61
	v_subrev_u32_e32 v51, s97, v53                             // 000000002F34: 6C666A61
	s_nop 0                                                    // 000000002F38: BF800000
	v_cndmask_b32_e32 v50, v50, v52, vcc                       // 000000002F3C: 00646932
	v_cndmask_b32_e32 v53, v53, v51, vcc                       // 000000002F40: 006A6735
	v_add_u32_e32 v51, 1, v50                                  // 000000002F44: 68666481
	v_cmp_le_u32_e32 vcc, s97, v53                             // 000000002F48: 7D966A61
	s_nop 1                                                    // 000000002F4C: BF800001
	v_cndmask_b32_e32 v53, v50, v51, vcc                       // 000000002F50: 006A6732
	s_nop 3                                                    // 000000002F54: BF800003
	v_readfirstlane_b32 s3, v53                                // 000000002F58: 7E060535
	s_nop 3                                                    // 000000002F5C: BF800003
	s_mul_i32 s60, s3, s97                                     // 000000002F60: 923C6103
	s_sub_u32 s2, s99, s60                                     // 000000002F64: 80823C63
	s_mul_i32 s60, s98, s100                                   // 000000002F68: 923C6462
	s_add_i32 s3, s3, s60                                      // 000000002F6C: 81033C03

0000000000002f70 <label_005C>:
	s_and_b32 s1, s1, 0xffff                                   // 000000002F70: 8601FF01 0000FFFF
	s_load_dwordx2 s[8:9], s[0:1], 0x0                         // 000000002F78: C0060200 00000000
	s_load_dwordx2 s[20:21], s[0:1], 0x10                      // 000000002F80: C0060500 00000010
	s_load_dwordx2 s[24:25], s[0:1], 0x20                      // 000000002F88: C0060600 00000020
	s_load_dwordx2 s[50:51], s[0:1], 0x30                      // 000000002F90: C0060C80 00000030
	s_load_dwordx2 s[12:13], s[0:1], 0x40                      // 000000002F98: C0060300 00000040
	s_load_dwordx2 s[28:29], s[0:1], 0x50                      // 000000002FA0: C0060700 00000050
	s_load_dwordx2 s[32:33], s[0:1], 0x60                      // 000000002FA8: C0060800 00000060
	s_load_dwordx2 s[16:17], s[0:1], 0x70                      // 000000002FB0: C0060400 00000070
	s_load_dwordx2 s[36:37], s[0:1], 0x80                      // 000000002FB8: C0060900 00000080
	s_load_dwordx2 s[44:45], s[0:1], 0x90                      // 000000002FC0: C0060B00 00000090
	s_load_dwordx2 s[40:41], s[0:1], 0xa0                      // 000000002FC8: C0060A00 000000A0
	s_load_dwordx2 s[46:47], s[0:1], 0xb0                      // 000000002FD0: C0060B80 000000B0
	s_load_dword s64, s[0:1], 0xc0                             // 000000002FD8: C0021000 000000C0
	s_load_dword s65, s[0:1], 0xd0                             // 000000002FE0: C0021040 000000D0
	s_load_dword s67, s[0:1], 0xf0                             // 000000002FE8: C00210C0 000000F0
	s_load_dword s68, s[0:1], 0x100                            // 000000002FF0: C0021100 00000100
	s_load_dword s69, s[0:1], 0x110                            // 000000002FF8: C0021140 00000110
	s_load_dword s70, s[0:1], 0x120                            // 000000003000: C0021180 00000120
	s_load_dword s71, s[0:1], 0x130                            // 000000003008: C00211C0 00000130
	s_load_dword s72, s[0:1], 0x140                            // 000000003010: C0021200 00000140
	s_load_dword s73, s[0:1], 0x150                            // 000000003018: C0021240 00000150
	s_load_dword s74, s[0:1], 0x160                            // 000000003020: C0021280 00000160
	s_load_dword s75, s[0:1], 0x170                            // 000000003028: C00212C0 00000170
	s_load_dword s76, s[0:1], 0x180                            // 000000003030: C0021300 00000180
	s_load_dword s63, s[0:1], 0x190                            // 000000003038: C0020FC0 00000190
	s_mov_b32 s2, s2                                           // 000000003040: BE820002
	s_mov_b32 s3, s3                                           // 000000003044: BE830003
	s_mov_b32 s4, s4                                           // 000000003048: BE840004
	s_waitcnt lgkmcnt(0)                                       // 00000000304C: BF8CC07F
	s_and_b32 s51, s51, 0xffff                                 // 000000003050: 8633FF33 0000FFFF
	s_load_dword s66, s[50:51], 0x4                            // 000000003058: C0021099 00000004
	s_load_dword s50, s[50:51], 0x0                            // 000000003060: C0020C99 00000000
	s_waitcnt lgkmcnt(0)                                       // 000000003068: BF8CC07F
	s_and_b32 s45, s45, 0xffff                                 // 00000000306C: 862DFF2D 0000FFFF
	s_and_b32 s47, s47, 0xffff                                 // 000000003074: 862FFF2F 0000FFFF
	s_and_b32 s9, s9, 0xffff                                   // 00000000307C: 8609FF09 0000FFFF
	s_mul_i32 s60, s66, s68                                    // 000000003084: 923C4442
	s_mul_i32 s60, s63, s60                                    // 000000003088: 923C3C3F
	s_mul_i32 s61, s66, 4                                      // 00000000308C: 923D8442
	s_mul_i32 s61, s63, s61                                    // 000000003090: 923D3D3F
	s_mov_b32 s22, s60                                         // 000000003094: BE96003C
	s_mov_b32 s26, -16                                         // 000000003098: BE9A00D0
	s_mov_b32 s14, -16                                         // 00000000309C: BE8E00D0
	s_mov_b32 s42, -16                                         // 0000000030A0: BEAA00D0
	s_mov_b32 s30, s61                                         // 0000000030A4: BE9E003D
	s_mov_b32 s34, 0x800                                       // 0000000030A8: BEA200FF 00000800
	s_mov_b32 s38, 0x800                                       // 0000000030B0: BEA600FF 00000800
	s_mov_b32 s18, -16                                         // 0000000030B8: BE9200D0
	s_mov_b32 s23, 0x20000                                     // 0000000030BC: BE9700FF 00020000
	s_mov_b32 s27, 0x20000                                     // 0000000030C4: BE9B00FF 00020000
	s_mov_b32 s15, 0x20000                                     // 0000000030CC: BE8F00FF 00020000
	s_mov_b32 s43, 0x20000                                     // 0000000030D4: BEAB00FF 00020000
	s_mov_b32 s31, 0x20000                                     // 0000000030DC: BE9F00FF 00020000
	s_mov_b32 s35, 0x20000                                     // 0000000030E4: BEA300FF 00020000
	s_mov_b32 s39, 0x20000                                     // 0000000030EC: BEA700FF 00020000
	s_mov_b32 s19, 0x20000                                     // 0000000030F4: BE9300FF 00020000
	s_and_b32 s21, s21, 0xffff                                 // 0000000030FC: 8615FF15 0000FFFF
	s_and_b32 s25, s25, 0xffff                                 // 000000003104: 8619FF19 0000FFFF
	s_and_b32 s13, s13, 0xffff                                 // 00000000310C: 860DFF0D 0000FFFF
	s_and_b32 s41, s41, 0xffff                                 // 000000003114: 8629FF29 0000FFFF
	s_and_b32 s29, s29, 0xffff                                 // 00000000311C: 861DFF1D 0000FFFF
	s_and_b32 s33, s33, 0xffff                                 // 000000003124: 8621FF21 0000FFFF
	s_and_b32 s37, s37, 0xffff                                 // 00000000312C: 8625FF25 0000FFFF
	s_and_b32 s17, s17, 0xffff                                 // 000000003134: 8611FF11 0000FFFF
	s_or_b32 s21, s21, 0x40000                                 // 00000000313C: 8715FF15 00040000
	s_or_b32 s25, s25, 0x40000                                 // 000000003144: 8719FF19 00040000
	s_or_b32 s13, s13, 0x40000                                 // 00000000314C: 870DFF0D 00040000
	s_or_b32 s41, s41, 0x40000                                 // 000000003154: 8729FF29 00040000
	s_or_b32 s29, s29, 0x40000                                 // 00000000315C: 871DFF1D 00040000
	s_or_b32 s33, s33, 0x40000                                 // 000000003164: 8721FF21 00040000
	s_or_b32 s37, s37, 0x40000                                 // 00000000316C: 8725FF25 00040000
	s_or_b32 s17, s17, 0x40000                                 // 000000003174: 8711FF11 00040000
	v_accvgpr_write_b32 a255, 0                                // 00000000317C: D3D940FF 18000080
	v_mov_b32_e32 v255, 0                                      // 000000003184: 7FFE0280
	s_waitcnt lgkmcnt(0)                                       // 000000003188: BF8CC07F
	s_mul_i32 s60, s3, 32                                      // 00000000318C: 923CA003
	s_cmp_lt_i32 s60, s50                                      // 000000003190: BF04323C
	s_cbranch_scc0 label_20BF                                  // 000000003194: BF841FD9
	s_mov_b32 s80, 0                                           // 000000003198: BED00080
	s_mov_b32 s81, s64                                         // 00000000319C: BED10040
	s_mul_i32 s60, s3, 4                                       // 0000000031A0: 923C8403
	s_add_u32 s46, s60, s46                                    // 0000000031A4: 802E2E3C
	s_addc_u32 s47, 0, s47                                     // 0000000031A8: 822F2F80
	s_load_dword s5, s[46:47], 0x0                             // 0000000031AC: C0020157 00000000
	s_mul_i32 s60, s3, 32                                      // 0000000031B4: 923CA003
	s_mul_i32 s60, 4, s60                                      // 0000000031B8: 923C3C84
	v_and_b32_e32 v50, 15, v0                                  // 0000000031BC: 2664008F
	v_lshlrev_b32_e32 v50, 2, v50                              // 0000000031C0: 24646482
	v_add_u32_e32 v50, s60, v50                                // 0000000031C4: 6864643C
	v_mov_b32_e32 v51, 0                                       // 0000000031C8: 7E660280
	global_load_dword v6, v50, s[44:45]                        // 0000000031CC: DC508000 062C0032
	v_add_u32_e32 v50, 64, v50                                 // 0000000031D4: 686464C0
	global_load_dword v7, v50, s[44:45]                        // 0000000031D8: DC508000 072C0032
	s_mul_i32 s60, s3, 32                                      // 0000000031E0: 923CA003
	s_add_u32 s60, s7, s60                                     // 0000000031E4: 803C3C07
	s_mul_i32 s60, 4, s60                                      // 0000000031E8: 923C3C84
	s_add_u32 s44, s60, s44                                    // 0000000031EC: 802C2C3C
	s_addc_u32 s45, 0, s45                                     // 0000000031F0: 822D2D80
	s_load_dword s82, s[44:45], 0x0                            // 0000000031F4: C0021496 00000000
	s_load_dword s83, s[44:45], 0x10                           // 0000000031FC: C00214D6 00000010
	s_load_dword s84, s[44:45], 0x20                           // 000000003204: C0021516 00000020
	s_load_dword s85, s[44:45], 0x30                           // 00000000320C: C0021556 00000030
	s_load_dword s86, s[44:45], 0x40                           // 000000003214: C0021596 00000040
	s_load_dword s87, s[44:45], 0x50                           // 00000000321C: C00215D6 00000050
	s_load_dword s88, s[44:45], 0x60                           // 000000003224: C0021616 00000060
	s_load_dword s89, s[44:45], 0x70                           // 00000000322C: C0021656 00000070
	s_waitcnt lgkmcnt(0)                                       // 000000003234: BF8CC07F
	v_lshlrev_b32_e32 v50, 2, v0                               // 000000003238: 24640082
	s_lshr_b32 s61, s82, 24                                    // 00000000323C: 8F3D9852
	s_mul_i32 s61, s61, s68                                    // 000000003240: 923D443D
	s_mul_i32 s61, s61, s66                                    // 000000003244: 923D423D
	s_and_b32 s82, s82, 0xffffff                               // 000000003248: 8652FF52 00FFFFFF
	s_mul_i32 s60, s82, s68                                    // 000000003250: 923C4452
	s_add_u32 s60, s61, s60                                    // 000000003254: 803C3C3D
	v_add_u32_e64 v26, v50, s60                                // 000000003258: D134001A 00007932
	s_lshr_b32 s61, s83, 24                                    // 000000003260: 8F3D9853
	s_mul_i32 s61, s61, s68                                    // 000000003264: 923D443D
	s_mul_i32 s61, s61, s66                                    // 000000003268: 923D423D
	s_and_b32 s83, s83, 0xffffff                               // 00000000326C: 8653FF53 00FFFFFF
	s_mul_i32 s60, s83, s68                                    // 000000003274: 923C4453
	s_add_u32 s60, s61, s60                                    // 000000003278: 803C3C3D
	v_add_u32_e64 v27, v50, s60                                // 00000000327C: D134001B 00007932
	s_lshr_b32 s61, s84, 24                                    // 000000003284: 8F3D9854
	s_mul_i32 s61, s61, s68                                    // 000000003288: 923D443D
	s_mul_i32 s61, s61, s66                                    // 00000000328C: 923D423D
	s_and_b32 s84, s84, 0xffffff                               // 000000003290: 8654FF54 00FFFFFF
	s_mul_i32 s60, s84, s68                                    // 000000003298: 923C4454
	s_add_u32 s60, s61, s60                                    // 00000000329C: 803C3C3D
	v_add_u32_e64 v28, v50, s60                                // 0000000032A0: D134001C 00007932
	s_lshr_b32 s61, s85, 24                                    // 0000000032A8: 8F3D9855
	s_mul_i32 s61, s61, s68                                    // 0000000032AC: 923D443D
	s_mul_i32 s61, s61, s66                                    // 0000000032B0: 923D423D
	s_and_b32 s85, s85, 0xffffff                               // 0000000032B4: 8655FF55 00FFFFFF
	s_mul_i32 s60, s85, s68                                    // 0000000032BC: 923C4455
	s_add_u32 s60, s61, s60                                    // 0000000032C0: 803C3C3D
	v_add_u32_e64 v29, v50, s60                                // 0000000032C4: D134001D 00007932
	s_lshr_b32 s61, s86, 24                                    // 0000000032CC: 8F3D9856
	s_mul_i32 s61, s61, s68                                    // 0000000032D0: 923D443D
	s_mul_i32 s61, s61, s66                                    // 0000000032D4: 923D423D
	s_and_b32 s86, s86, 0xffffff                               // 0000000032D8: 8656FF56 00FFFFFF
	s_mul_i32 s60, s86, s68                                    // 0000000032E0: 923C4456
	s_add_u32 s60, s61, s60                                    // 0000000032E4: 803C3C3D
	v_add_u32_e64 v30, v50, s60                                // 0000000032E8: D134001E 00007932
	s_lshr_b32 s61, s87, 24                                    // 0000000032F0: 8F3D9857
	s_mul_i32 s61, s61, s68                                    // 0000000032F4: 923D443D
	s_mul_i32 s61, s61, s66                                    // 0000000032F8: 923D423D
	s_and_b32 s87, s87, 0xffffff                               // 0000000032FC: 8657FF57 00FFFFFF
	s_mul_i32 s60, s87, s68                                    // 000000003304: 923C4457
	s_add_u32 s60, s61, s60                                    // 000000003308: 803C3C3D
	v_add_u32_e64 v31, v50, s60                                // 00000000330C: D134001F 00007932
	s_lshr_b32 s61, s88, 24                                    // 000000003314: 8F3D9858
	s_mul_i32 s61, s61, s68                                    // 000000003318: 923D443D
	s_mul_i32 s61, s61, s66                                    // 00000000331C: 923D423D
	s_and_b32 s88, s88, 0xffffff                               // 000000003320: 8658FF58 00FFFFFF
	s_mul_i32 s60, s88, s68                                    // 000000003328: 923C4458
	s_add_u32 s60, s61, s60                                    // 00000000332C: 803C3C3D
	v_add_u32_e64 v32, v50, s60                                // 000000003330: D1340020 00007932
	s_lshr_b32 s61, s89, 24                                    // 000000003338: 8F3D9859
	s_mul_i32 s61, s61, s68                                    // 00000000333C: 923D443D
	s_mul_i32 s61, s61, s66                                    // 000000003340: 923D423D
	s_and_b32 s89, s89, 0xffffff                               // 000000003344: 8659FF59 00FFFFFF
	s_mul_i32 s60, s89, s68                                    // 00000000334C: 923C4459
	s_add_u32 s60, s61, s60                                    // 000000003350: 803C3C3D
	v_add_u32_e64 v33, v50, s60                                // 000000003354: D1340021 00007932
	v_lshlrev_b32_e32 v50, 2, v0                               // 00000000335C: 24640082
	s_mul_i32 s60, s82, s71                                    // 000000003360: 923C4752
	v_add_u32_e64 v80, v50, s60                                // 000000003364: D1340050 00007932
	v_mov_b32_e32 v81, 0                                       // 00000000336C: 7EA20280
	s_mul_i32 s60, s83, s71                                    // 000000003370: 923C4753
	v_add_u32_e64 v82, v50, s60                                // 000000003374: D1340052 00007932
	v_mov_b32_e32 v83, 0                                       // 00000000337C: 7EA60280
	s_mul_i32 s60, s84, s71                                    // 000000003380: 923C4754
	v_add_u32_e64 v84, v50, s60                                // 000000003384: D1340054 00007932
	v_mov_b32_e32 v85, 0                                       // 00000000338C: 7EAA0280
	s_mul_i32 s60, s85, s71                                    // 000000003390: 923C4755
	v_add_u32_e64 v86, v50, s60                                // 000000003394: D1340056 00007932
	v_mov_b32_e32 v87, 0                                       // 00000000339C: 7EAE0280
	s_mul_i32 s60, s86, s71                                    // 0000000033A0: 923C4756
	v_add_u32_e64 v88, v50, s60                                // 0000000033A4: D1340058 00007932
	v_mov_b32_e32 v89, 0                                       // 0000000033AC: 7EB20280
	s_mul_i32 s60, s87, s71                                    // 0000000033B0: 923C4757
	v_add_u32_e64 v90, v50, s60                                // 0000000033B4: D134005A 00007932
	v_mov_b32_e32 v91, 0                                       // 0000000033BC: 7EB60280
	s_mul_i32 s60, s88, s71                                    // 0000000033C0: 923C4758
	v_add_u32_e64 v92, v50, s60                                // 0000000033C4: D134005C 00007932
	v_mov_b32_e32 v93, 0                                       // 0000000033CC: 7EBA0280
	s_mul_i32 s60, s89, s71                                    // 0000000033D0: 923C4759
	v_add_u32_e64 v94, v50, s60                                // 0000000033D4: D134005E 00007932
	v_mov_b32_e32 v95, 0                                       // 0000000033DC: 7EBE0280
	s_mul_i32 s60, s7, 0x820                                   // 0000000033E0: 923CFF07 00000820
	s_add_u32 s50, 0, s60                                      // 0000000033E8: 80323C80
	s_add_u32 s51, 0x2080, s50                                 // 0000000033EC: 803332FF 00002080
	v_lshrrev_b32_e32 v50, 4, v0                               // 0000000033F4: 20640084
	v_lshlrev_b32_e32 v51, 2, v50                              // 0000000033F8: 24666482
	v_and_b32_e32 v50, 15, v0                                  // 0000000033FC: 2664008F
	v_lshrrev_b32_e32 v52, 2, v50                              // 000000003400: 20686482
	v_lshlrev_b32_e32 v52, 6, v52                              // 000000003404: 24686886
	v_add_u32_e32 v51, v52, v51                                // 000000003408: 68666734
	v_and_b32_e32 v50, 3, v0                                   // 00000000340C: 26640083
	v_mul_i32_i24_e32 v52, 0x208, v50                          // 000000003410: 0C6864FF 00000208
	v_add_u32_e32 v51, v52, v51                                // 000000003418: 68666734
	v_lshlrev_b32_e32 v2, 2, v51                               // 00000000341C: 24046682
	s_mul_i32 s60, s2, 0x200                                   // 000000003420: 923CFF02 00000200
	s_mul_i32 s60, s60, s69                                    // 000000003428: 923C453C
	s_mul_i32 s61, s5, s72                                     // 00000000342C: 923D4805
	s_add_u32 s60, s61, s60                                    // 000000003430: 803C3C3D
	s_add_u32 s24, s60, s24                                    // 000000003434: 8018183C
	s_addc_u32 s25, 0, s25                                     // 000000003438: 82191980
	s_mul_i32 s60, s7, 16                                      // 00000000343C: 923C9007
	s_mul_i32 s60, s60, s69                                    // 000000003440: 923C453C
	v_lshlrev_b32_e32 v34, 4, v0                               // 000000003444: 24440084
	v_add_u32_e32 v34, s60, v34                                // 000000003448: 6844443C
	s_mul_i32 s60, 64, s69                                     // 00000000344C: 923C45C0
	v_add_u32_e32 v35, s60, v34                                // 000000003450: 6846443C
	v_add_u32_e32 v36, s60, v35                                // 000000003454: 6848463C
	v_add_u32_e32 v37, s60, v36                                // 000000003458: 684A483C
	v_add_u32_e32 v38, s60, v37                                // 00000000345C: 684C4A3C
	v_add_u32_e32 v39, s60, v38                                // 000000003460: 684E4C3C
	v_add_u32_e32 v40, s60, v39                                // 000000003464: 68504E3C
	v_add_u32_e32 v41, s60, v40                                // 000000003468: 6852503C
	s_mul_i32 s60, s2, 0x2000                                  // 00000000346C: 923CFF02 00002000
	s_mul_i32 s61, s5, s73                                     // 000000003474: 923D4905
	s_add_u32 s60, s61, s60                                    // 000000003478: 803C3C3D
	s_add_u32 s12, s60, s12                                    // 00000000347C: 800C0C3C
	s_addc_u32 s13, 0, s13                                     // 000000003480: 820D0D80
	s_mul_i32 s60, s7, 16                                      // 000000003484: 923C9007
	s_mul_i32 s60, s60, s70                                    // 000000003488: 923C463C
	v_lshlrev_b32_e32 v42, 4, v0                               // 00000000348C: 24540084
	v_add_u32_e32 v42, s60, v42                                // 000000003490: 6854543C
	s_mul_i32 s60, 64, s70                                     // 000000003494: 923C46C0
	v_add_u32_e32 v43, s60, v42                                // 000000003498: 6856543C
	v_add_u32_e32 v44, s60, v43                                // 00000000349C: 6858563C
	v_add_u32_e32 v45, s60, v44                                // 0000000034A0: 685A583C
	s_mul_i32 s60, s3, 32                                      // 0000000034A4: 923CA003
	s_mul_i32 s60, 4, s60                                      // 0000000034A8: 923C3C84
	s_add_u32 s40, s60, s40                                    // 0000000034AC: 8028283C
	s_addc_u32 s41, 0, s41                                     // 0000000034B0: 82292980
	v_and_b32_e32 v50, 15, v0                                  // 0000000034B4: 2664008F
	v_lshlrev_b32_e32 v8, 2, v50                               // 0000000034B8: 24106482
	v_add_u32_e32 v9, 64, v8                                   // 0000000034BC: 681210C0
	v_lshrrev_b32_e32 v50, 4, v0                               // 0000000034C0: 20640084
	v_lshlrev_b32_e32 v51, 2, v50                              // 0000000034C4: 24666482
	v_and_b32_e32 v50, 15, v0                                  // 0000000034C8: 2664008F
	v_lshrrev_b32_e32 v52, 2, v50                              // 0000000034CC: 20686482
	v_lshlrev_b32_e32 v52, 6, v52                              // 0000000034D0: 24686886
	v_add_u32_e32 v51, v52, v51                                // 0000000034D4: 68666734
	v_and_b32_e32 v50, 3, v0                                   // 0000000034D8: 26640083
	v_add_u32_e32 v51, v50, v51                                // 0000000034DC: 68666732
	v_lshlrev_b32_e32 v10, 2, v51                              // 0000000034E0: 24146682
	v_add_u32_e32 v11, 0x400, v10                              // 0000000034E4: 681614FF 00000400
	s_mul_i32 s60, s7, 16                                      // 0000000034EC: 923C9007
	s_mul_i32 s60, s60, 4                                      // 0000000034F0: 923C843C
	v_add_u32_e32 v10, s60, v10                                // 0000000034F4: 6814143C
	v_add_u32_e32 v11, s60, v11                                // 0000000034F8: 6816163C
	v_mov_b32_e32 v5, v10                                      // 0000000034FC: 7E0A030A
	s_mul_i32 s60, s2, 0x200                                   // 000000003500: 923CFF02 00000200
	s_mul_i32 s60, s60, 4                                      // 000000003508: 923C843C
	s_mul_i32 s61, s5, s74                                     // 00000000350C: 923D4A05
	s_add_u32 s61, s61, s60                                    // 000000003510: 803D3C3D
	s_mul_i32 s62, s5, s76                                     // 000000003514: 923E4C05
	s_add_u32 s62, s62, s60                                    // 000000003518: 803E3C3E
	s_add_u32 s32, s61, s32                                    // 00000000351C: 8020203D
	s_addc_u32 s33, 0, s33                                     // 000000003520: 82212180
	s_add_u32 s36, s62, s36                                    // 000000003524: 8024243E
	s_addc_u32 s37, 0, s37                                     // 000000003528: 82252580
	s_mul_i32 s60, s5, s75                                     // 00000000352C: 923C4B05
	s_add_u32 s16, s60, s16                                    // 000000003530: 8010103C
	s_addc_u32 s17, 0, s17                                     // 000000003534: 82111180
	s_mov_b32 s57, 0x100                                       // 000000003538: BEB900FF 00000100
	s_mov_b32 s58, 0x1000                                      // 000000003540: BEBA00FF 00001000
	s_mov_b32 s79, 0x400                                       // 000000003548: BECF00FF 00000400
	s_mov_b32 s59, 0x200                                       // 000000003550: BEBB00FF 00000200
	s_mul_i32 s60, s70, 0x100                                  // 000000003558: 923CFF46 00000100
	s_mov_b32 s78, 0x400                                       // 000000003560: BECE00FF 00000400
	s_mul_i32 s61, s78, 7                                      // 000000003568: 923D874E
	s_sub_u32 s56, s60, s61                                    // 00000000356C: 80B83D3C
	s_mov_b32 s52, 0x7060302                                   // 000000003570: BEB400FF 07060302
	s_mov_b32 s53, 0x400                                       // 000000003578: BEB500FF 00000400
	s_mov_b32 s54, 0x40100                                     // 000000003580: BEB600FF 00040100
	s_mov_b32 s55, 0x4020100                                   // 000000003588: BEB700FF 04020100
	s_mov_b32 s6, 0x3fb8aa3b                                   // 000000003590: BE8600FF 3FB8AA3B
	s_mov_b32 s77, 0xbd92220c                                  // 000000003598: BECD00FF BD92220C
	s_mov_b32 m0, s50                                          // 0000000035A0: BEFC0032
	v_mov_b32_e32 v1, 0xbfcc4231                               // 0000000035A4: 7E0202FF BFCC4231
	v_mov_b32_e32 v47, 0xffff0000                              // 0000000035AC: 7E5E02FF FFFF0000
	v_mov_b32_e32 v48, 0x7fff0000                              // 0000000035B4: 7E6002FF 7FFF0000
	v_mov_b32_e32 v49, 0x7fff                                  // 0000000035BC: 7E6202FF 00007FFF
	s_waitcnt vmcnt(0) expcnt(0) lgkmcnt(0)                    // 0000000035C4: BF8C0000
	v_lshrrev_b32_e32 v50, 24, v6                              // 0000000035C8: 20640C98
	v_mul_i32_i24_e32 v50, s66, v50                            // 0000000035CC: 0C646442
	v_and_b32_e32 v51, 0xffffff, v6                            // 0000000035D0: 26660CFF 00FFFFFF
	v_add_u32_e32 v6, v50, v51                                 // 0000000035D8: 680C6732
	v_lshrrev_b32_e32 v50, 24, v7                              // 0000000035DC: 20640E98
	v_mul_i32_i24_e32 v50, s66, v50                            // 0000000035E0: 0C646442
	v_and_b32_e32 v51, 0xffffff, v7                            // 0000000035E4: 26660EFF 00FFFFFF
	v_add_u32_e32 v7, v50, v51                                 // 0000000035EC: 680E6732
	v_lshlrev_b32_e32 v6, 2, v6                                // 0000000035F0: 240C0C82
	v_lshlrev_b32_e32 v7, 2, v7                                // 0000000035F4: 240E0E82
	buffer_load_dword v14, v6, s[28:31], 0 offen               // 0000000035F8: E0501000 80070E06
	buffer_load_dword v15, v7, s[28:31], 0 offen               // 000000003600: E0501000 80070F07
	buffer_load_dword v16, v10, s[32:35], 0 offen              // 000000003608: E0501000 8008100A
	buffer_load_dword v17, v11, s[32:35], 0 offen              // 000000003610: E0501000 8008110B
	buffer_load_dword v18, v10, s[36:39], 0 offen              // 000000003618: E0501000 8009120A
	buffer_load_dword v19, v11, s[36:39], 0 offen              // 000000003620: E0501000 8009130B
	buffer_load_dword v20, v8, s[40:43], 0 offen               // 000000003628: E0501000 800A1408
	buffer_load_dword v21, v9, s[40:43], 0 offen               // 000000003630: E0501000 800A1509
	buffer_load_dword v26, s[20:23], 0 offen lds               // 000000003638: E0511000 8005001A
	s_add_u32 m0, 0x100, s50                                   // 000000003640: 807C32FF 00000100
	buffer_load_dword v27, s[20:23], 0 offen lds               // 000000003648: E0511000 8005001B
	s_add_u32 m0, 0x200, s50                                   // 000000003650: 807C32FF 00000200
	buffer_load_dword v28, s[20:23], 0 offen lds               // 000000003658: E0511000 8005001C
	s_add_u32 m0, 0x300, s50                                   // 000000003660: 807C32FF 00000300
	buffer_load_dword v29, s[20:23], 0 offen lds               // 000000003668: E0511000 8005001D
	s_add_u32 m0, 0x400, s50                                   // 000000003670: 807C32FF 00000400
	buffer_load_dword v30, s[20:23], 0 offen lds               // 000000003678: E0511000 8005001E
	s_add_u32 m0, 0x500, s50                                   // 000000003680: 807C32FF 00000500
	buffer_load_dword v31, s[20:23], 0 offen lds               // 000000003688: E0511000 8005001F
	s_add_u32 m0, 0x600, s50                                   // 000000003690: 807C32FF 00000600
	buffer_load_dword v32, s[20:23], 0 offen lds               // 000000003698: E0511000 80050020
	s_add_u32 m0, 0x700, s50                                   // 0000000036A0: 807C32FF 00000700
	buffer_load_dword v33, s[20:23], 0 offen lds               // 0000000036A8: E0511000 80050021
	s_add_u32 m0, 0, s51                                       // 0000000036B0: 807C3380
	s_add_u32 s20, s57, s20                                    // 0000000036B4: 80141439
	s_addc_u32 s21, 0, s21                                     // 0000000036B8: 82151580
	buffer_load_dword v26, s[20:23], 0 offen lds               // 0000000036BC: E0511000 8005001A
	s_add_u32 m0, 0x100, s51                                   // 0000000036C4: 807C33FF 00000100
	buffer_load_dword v27, s[20:23], 0 offen lds               // 0000000036CC: E0511000 8005001B
	s_add_u32 m0, 0x200, s51                                   // 0000000036D4: 807C33FF 00000200
	buffer_load_dword v28, s[20:23], 0 offen lds               // 0000000036DC: E0511000 8005001C
	s_add_u32 m0, 0x300, s51                                   // 0000000036E4: 807C33FF 00000300
	buffer_load_dword v29, s[20:23], 0 offen lds               // 0000000036EC: E0511000 8005001D
	s_add_u32 m0, 0x400, s51                                   // 0000000036F4: 807C33FF 00000400
	buffer_load_dword v30, s[20:23], 0 offen lds               // 0000000036FC: E0511000 8005001E
	s_add_u32 m0, 0x500, s51                                   // 000000003704: 807C33FF 00000500
	buffer_load_dword v31, s[20:23], 0 offen lds               // 00000000370C: E0511000 8005001F
	s_add_u32 m0, 0x600, s51                                   // 000000003714: 807C33FF 00000600
	buffer_load_dword v32, s[20:23], 0 offen lds               // 00000000371C: E0511000 80050020
	s_add_u32 m0, 0x700, s51                                   // 000000003724: 807C33FF 00000700
	buffer_load_dword v33, s[20:23], 0 offen lds               // 00000000372C: E0511000 80050021
	s_add_u32 m0, 0, s50                                       // 000000003734: 807C3280
	s_add_u32 s20, s57, s20                                    // 000000003738: 80141439
	s_addc_u32 s21, 0, s21                                     // 00000000373C: 82151580
	buffer_load_dwordx4 a[0:3], v34, s[24:27], 0 offen         // 000000003740: E05C1000 80860022
	buffer_load_dwordx4 a[4:7], v34, s[24:27], 0 offen offset:1024// 000000003748: E05C1400 80860422
	buffer_load_dwordx4 a[8:11], v34, s[24:27], 0 offen offset:2048// 000000003750: E05C1800 80860822
	buffer_load_dwordx4 a[12:15], v34, s[24:27], 0 offen offset:3072// 000000003758: E05C1C00 80860C22
	buffer_load_dwordx4 a[16:19], v35, s[24:27], 0 offen       // 000000003760: E05C1000 80861023
	buffer_load_dwordx4 a[20:23], v35, s[24:27], 0 offen offset:1024// 000000003768: E05C1400 80861423
	buffer_load_dwordx4 a[24:27], v35, s[24:27], 0 offen offset:2048// 000000003770: E05C1800 80861823
	buffer_load_dwordx4 a[28:31], v35, s[24:27], 0 offen offset:3072// 000000003778: E05C1C00 80861C23
	buffer_load_dwordx4 a[32:35], v36, s[24:27], 0 offen       // 000000003780: E05C1000 80862024
	buffer_load_dwordx4 a[36:39], v36, s[24:27], 0 offen offset:1024// 000000003788: E05C1400 80862424
	buffer_load_dwordx4 a[40:43], v36, s[24:27], 0 offen offset:2048// 000000003790: E05C1800 80862824
	buffer_load_dwordx4 a[44:47], v36, s[24:27], 0 offen offset:3072// 000000003798: E05C1C00 80862C24
	buffer_load_dwordx4 a[48:51], v37, s[24:27], 0 offen       // 0000000037A0: E05C1000 80863025
	buffer_load_dwordx4 a[52:55], v37, s[24:27], 0 offen offset:1024// 0000000037A8: E05C1400 80863425
	buffer_load_dwordx4 a[56:59], v37, s[24:27], 0 offen offset:2048// 0000000037B0: E05C1800 80863825
	buffer_load_dwordx4 a[60:63], v37, s[24:27], 0 offen offset:3072// 0000000037B8: E05C1C00 80863C25
	buffer_load_dwordx4 a[64:67], v38, s[24:27], 0 offen       // 0000000037C0: E05C1000 80864026
	buffer_load_dwordx4 a[68:71], v38, s[24:27], 0 offen offset:1024// 0000000037C8: E05C1400 80864426
	buffer_load_dwordx4 a[72:75], v38, s[24:27], 0 offen offset:2048// 0000000037D0: E05C1800 80864826
	buffer_load_dwordx4 a[76:79], v38, s[24:27], 0 offen offset:3072// 0000000037D8: E05C1C00 80864C26
	buffer_load_dwordx4 a[80:83], v39, s[24:27], 0 offen       // 0000000037E0: E05C1000 80865027
	buffer_load_dwordx4 a[84:87], v39, s[24:27], 0 offen offset:1024// 0000000037E8: E05C1400 80865427
	buffer_load_dwordx4 a[88:91], v39, s[24:27], 0 offen offset:2048// 0000000037F0: E05C1800 80865827
	buffer_load_dwordx4 a[92:95], v39, s[24:27], 0 offen offset:3072// 0000000037F8: E05C1C00 80865C27
	buffer_load_dwordx4 a[96:99], v40, s[24:27], 0 offen       // 000000003800: E05C1000 80866028
	buffer_load_dwordx4 a[100:103], v40, s[24:27], 0 offen offset:1024// 000000003808: E05C1400 80866428
	buffer_load_dwordx4 a[104:107], v40, s[24:27], 0 offen offset:2048// 000000003810: E05C1800 80866828
	buffer_load_dwordx4 a[108:111], v40, s[24:27], 0 offen offset:3072// 000000003818: E05C1C00 80866C28
	buffer_load_dwordx4 a[112:115], v41, s[24:27], 0 offen     // 000000003820: E05C1000 80867029
	buffer_load_dwordx4 a[116:119], v41, s[24:27], 0 offen offset:1024// 000000003828: E05C1400 80867429
	buffer_load_dwordx4 a[120:123], v41, s[24:27], 0 offen offset:2048// 000000003830: E05C1800 80867829
	buffer_load_dwordx4 a[124:127], v41, s[24:27], 0 offen offset:3072// 000000003838: E05C1C00 80867C29
	s_add_u32 s24, s58, s24                                    // 000000003840: 8018183A
	s_addc_u32 s25, 0, s25                                     // 000000003844: 82191980
	v_mov_b32_e32 v128, 0                                      // 000000003848: 7F000280
	v_mov_b32_e32 v129, 0                                      // 00000000384C: 7F020280
	v_mov_b32_e32 v130, 0                                      // 000000003850: 7F040280
	v_mov_b32_e32 v131, 0                                      // 000000003854: 7F060280
	v_mov_b32_e32 v132, 0                                      // 000000003858: 7F080280
	v_mov_b32_e32 v133, 0                                      // 00000000385C: 7F0A0280
	v_mov_b32_e32 v134, 0                                      // 000000003860: 7F0C0280
	v_mov_b32_e32 v135, 0                                      // 000000003864: 7F0E0280
	v_mov_b32_e32 v136, 0                                      // 000000003868: 7F100280
	v_mov_b32_e32 v137, 0                                      // 00000000386C: 7F120280
	v_mov_b32_e32 v138, 0                                      // 000000003870: 7F140280
	v_mov_b32_e32 v139, 0                                      // 000000003874: 7F160280
	v_mov_b32_e32 v140, 0                                      // 000000003878: 7F180280
	v_mov_b32_e32 v141, 0                                      // 00000000387C: 7F1A0280
	v_mov_b32_e32 v142, 0                                      // 000000003880: 7F1C0280
	v_mov_b32_e32 v143, 0                                      // 000000003884: 7F1E0280
	v_mov_b32_e32 v144, 0                                      // 000000003888: 7F200280
	v_mov_b32_e32 v145, 0                                      // 00000000388C: 7F220280
	v_mov_b32_e32 v146, 0                                      // 000000003890: 7F240280
	v_mov_b32_e32 v147, 0                                      // 000000003894: 7F260280
	v_mov_b32_e32 v148, 0                                      // 000000003898: 7F280280
	v_mov_b32_e32 v149, 0                                      // 00000000389C: 7F2A0280
	v_mov_b32_e32 v150, 0                                      // 0000000038A0: 7F2C0280
	v_mov_b32_e32 v151, 0                                      // 0000000038A4: 7F2E0280
	v_mov_b32_e32 v152, 0                                      // 0000000038A8: 7F300280
	v_mov_b32_e32 v153, 0                                      // 0000000038AC: 7F320280
	v_mov_b32_e32 v154, 0                                      // 0000000038B0: 7F340280
	v_mov_b32_e32 v155, 0                                      // 0000000038B4: 7F360280
	v_mov_b32_e32 v156, 0                                      // 0000000038B8: 7F380280
	v_mov_b32_e32 v157, 0                                      // 0000000038BC: 7F3A0280
	v_mov_b32_e32 v158, 0                                      // 0000000038C0: 7F3C0280
	v_mov_b32_e32 v159, 0                                      // 0000000038C4: 7F3E0280
	v_mov_b32_e32 v160, 0                                      // 0000000038C8: 7F400280
	v_mov_b32_e32 v161, 0                                      // 0000000038CC: 7F420280
	v_mov_b32_e32 v162, 0                                      // 0000000038D0: 7F440280
	v_mov_b32_e32 v163, 0                                      // 0000000038D4: 7F460280
	v_mov_b32_e32 v164, 0                                      // 0000000038D8: 7F480280
	v_mov_b32_e32 v165, 0                                      // 0000000038DC: 7F4A0280
	v_mov_b32_e32 v166, 0                                      // 0000000038E0: 7F4C0280
	v_mov_b32_e32 v167, 0                                      // 0000000038E4: 7F4E0280
	v_mov_b32_e32 v168, 0                                      // 0000000038E8: 7F500280
	v_mov_b32_e32 v169, 0                                      // 0000000038EC: 7F520280
	v_mov_b32_e32 v170, 0                                      // 0000000038F0: 7F540280
	v_mov_b32_e32 v171, 0                                      // 0000000038F4: 7F560280
	v_mov_b32_e32 v172, 0                                      // 0000000038F8: 7F580280
	v_mov_b32_e32 v173, 0                                      // 0000000038FC: 7F5A0280
	v_mov_b32_e32 v174, 0                                      // 000000003900: 7F5C0280
	v_mov_b32_e32 v175, 0                                      // 000000003904: 7F5E0280
	v_mov_b32_e32 v176, 0                                      // 000000003908: 7F600280
	v_mov_b32_e32 v177, 0                                      // 00000000390C: 7F620280
	v_mov_b32_e32 v178, 0                                      // 000000003910: 7F640280
	v_mov_b32_e32 v179, 0                                      // 000000003914: 7F660280
	v_mov_b32_e32 v180, 0                                      // 000000003918: 7F680280
	v_mov_b32_e32 v181, 0                                      // 00000000391C: 7F6A0280
	v_mov_b32_e32 v182, 0                                      // 000000003920: 7F6C0280
	v_mov_b32_e32 v183, 0                                      // 000000003924: 7F6E0280
	v_mov_b32_e32 v184, 0                                      // 000000003928: 7F700280
	v_mov_b32_e32 v185, 0                                      // 00000000392C: 7F720280
	v_mov_b32_e32 v186, 0                                      // 000000003930: 7F740280
	v_mov_b32_e32 v187, 0                                      // 000000003934: 7F760280
	v_mov_b32_e32 v188, 0                                      // 000000003938: 7F780280
	v_mov_b32_e32 v189, 0                                      // 00000000393C: 7F7A0280
	v_mov_b32_e32 v190, 0                                      // 000000003940: 7F7C0280
	v_mov_b32_e32 v191, 0                                      // 000000003944: 7F7E0280
	v_lshrrev_b32_e32 v50, 4, v0                               // 000000003948: 20640084
	v_mul_i32_i24_e32 v3, 34, v50                              // 00000000394C: 0C0664A2
	v_and_b32_e32 v50, 15, v0                                  // 000000003950: 2664008F
	v_mul_i32_i24_e32 v51, 2, v50                              // 000000003954: 0C666482
	v_add_u32_e32 v3, v51, v3                                  // 000000003958: 68060733
	s_mul_i32 s60, s7, 0x88                                    // 00000000395C: 923CFF07 00000088
	v_add_u32_e32 v3, s60, v3                                  // 000000003964: 6806063C
	v_lshlrev_b32_e32 v3, 2, v3                                // 000000003968: 24060682
	v_lshrrev_b32_e32 v50, 1, v0                               // 00000000396C: 20640081
	v_mul_i32_i24_e32 v4, 34, v50                              // 000000003970: 0C0864A2
	v_and_b32_e32 v51, 1, v0                                   // 000000003974: 26660081
	v_add_u32_e32 v4, v51, v4                                  // 000000003978: 68080933
	s_mul_i32 s60, s7, 2                                       // 00000000397C: 923C8207
	v_add_u32_e32 v4, s60, v4                                  // 000000003980: 6808083C
	v_lshlrev_b32_e32 v4, 2, v4                                // 000000003984: 24080882
	s_waitcnt vmcnt(40)                                        // 000000003988: BF8C8F78
	s_barrier                                                  // 00000000398C: BF8A0000
	ds_read_b128 v[192:195], v2                                // 000000003990: D9FE0000 C0000002
	ds_read_b128 v[196:199], v2 offset:64                      // 000000003998: D9FE0040 C4000002
	ds_read_b128 v[200:203], v2 offset:128                     // 0000000039A0: D9FE0080 C8000002
	ds_read_b128 v[204:207], v2 offset:192                     // 0000000039A8: D9FE00C0 CC000002
	ds_read_b128 v[208:211], v2 offset:1024                    // 0000000039B0: D9FE0400 D0000002
	ds_read_b128 v[212:215], v2 offset:1088                    // 0000000039B8: D9FE0440 D4000002
	ds_read_b128 v[216:219], v2 offset:1152                    // 0000000039C0: D9FE0480 D8000002
	ds_read_b128 v[220:223], v2 offset:1216                    // 0000000039C8: D9FE04C0 DC000002
	s_cmp_lt_i32 s7, 2                                         // 0000000039D0: BF048207
	s_cbranch_scc0 label_11DA                                  // 0000000039D4: BF840EE4

00000000000039d8 <label_02F6>:
	s_waitcnt vmcnt(24) lgkmcnt(0)                             // 0000000039D8: BF8C4078
	s_barrier                                                  // 0000000039DC: BF8A0000
	v_mfma_i32_16x16x32_i8 v[128:131], a[0:1], v[192:193], v[128:131]// 0000000039E0: D3D70080 0E038100
	v_mfma_i32_16x16x32_i8 v[128:131], a[2:3], v[194:195], v[128:131]// 0000000039E8: D3D70080 0E038502
	buffer_load_dwordx4 a[128:131], v34, s[24:27], 0 offen     // 0000000039F0: E05C1000 80868022
	v_mfma_i32_16x16x32_i8 v[128:131], a[4:5], v[196:197], v[128:131]// 0000000039F8: D3D70080 0E038904
	v_mfma_i32_16x16x32_i8 v[128:131], a[6:7], v[198:199], v[128:131]// 000000003A00: D3D70080 0E038D06
	buffer_load_dword v26, s[20:23], 0 offen lds               // 000000003A08: E0511000 8005001A
	s_add_u32 m0, 0x100, s50                                   // 000000003A10: 807C32FF 00000100
	v_mfma_i32_16x16x32_i8 v[128:131], a[8:9], v[200:201], v[128:131]// 000000003A18: D3D70080 0E039108
	v_mfma_i32_16x16x32_i8 v[128:131], a[10:11], v[202:203], v[128:131]// 000000003A20: D3D70080 0E03950A
	buffer_load_dwordx4 a[132:135], v34, s[24:27], 0 offen offset:1024// 000000003A28: E05C1400 80868422
	v_mfma_i32_16x16x32_i8 v[128:131], a[12:13], v[204:205], v[128:131]// 000000003A30: D3D70080 0E03990C
	v_mfma_i32_16x16x32_i8 v[128:131], a[14:15], v[206:207], v[128:131]// 000000003A38: D3D70080 0E039D0E
	buffer_load_dword v27, s[20:23], 0 offen lds               // 000000003A40: E0511000 8005001B
	s_add_u32 m0, 0x200, s50                                   // 000000003A48: 807C32FF 00000200
	v_mfma_i32_16x16x32_i8 v[132:135], a[0:1], v[208:209], v[132:135]// 000000003A50: D3D70084 0E13A100
	v_mfma_i32_16x16x32_i8 v[132:135], a[2:3], v[210:211], v[132:135]// 000000003A58: D3D70084 0E13A502
	buffer_load_dwordx4 a[136:139], v34, s[24:27], 0 offen offset:2048// 000000003A60: E05C1800 80868822
	v_mfma_i32_16x16x32_i8 v[132:135], a[4:5], v[212:213], v[132:135]// 000000003A68: D3D70084 0E13A904
	v_mfma_i32_16x16x32_i8 v[132:135], a[6:7], v[214:215], v[132:135]// 000000003A70: D3D70084 0E13AD06
	buffer_load_dword v28, s[20:23], 0 offen lds               // 000000003A78: E0511000 8005001C
	s_add_u32 m0, 0x300, s50                                   // 000000003A80: 807C32FF 00000300
	v_mfma_i32_16x16x32_i8 v[132:135], a[8:9], v[216:217], v[132:135]// 000000003A88: D3D70084 0E13B108
	v_mfma_i32_16x16x32_i8 v[132:135], a[10:11], v[218:219], v[132:135]// 000000003A90: D3D70084 0E13B50A
	buffer_load_dwordx4 a[140:143], v34, s[24:27], 0 offen offset:3072// 000000003A98: E05C1C00 80868C22
	v_mfma_i32_16x16x32_i8 v[132:135], a[12:13], v[220:221], v[132:135]// 000000003AA0: D3D70084 0E13B90C
	v_mfma_i32_16x16x32_i8 v[132:135], a[14:15], v[222:223], v[132:135]// 000000003AA8: D3D70084 0E13BD0E
	buffer_load_dword v29, s[20:23], 0 offen lds               // 000000003AB0: E0511000 8005001D
	s_add_u32 m0, 0x400, s50                                   // 000000003AB8: 807C32FF 00000400
	v_mfma_i32_16x16x32_i8 v[136:139], a[16:17], v[192:193], v[136:139]// 000000003AC0: D3D70088 0E238110
	v_mfma_i32_16x16x32_i8 v[136:139], a[18:19], v[194:195], v[136:139]// 000000003AC8: D3D70088 0E238512
	buffer_load_dwordx4 a[144:147], v35, s[24:27], 0 offen     // 000000003AD0: E05C1000 80869023
	v_mfma_i32_16x16x32_i8 v[136:139], a[20:21], v[196:197], v[136:139]// 000000003AD8: D3D70088 0E238914
	v_mfma_i32_16x16x32_i8 v[136:139], a[22:23], v[198:199], v[136:139]// 000000003AE0: D3D70088 0E238D16
	buffer_load_dword v30, s[20:23], 0 offen lds               // 000000003AE8: E0511000 8005001E
	s_add_u32 m0, 0x500, s50                                   // 000000003AF0: 807C32FF 00000500
	v_mfma_i32_16x16x32_i8 v[136:139], a[24:25], v[200:201], v[136:139]// 000000003AF8: D3D70088 0E239118
	v_mfma_i32_16x16x32_i8 v[136:139], a[26:27], v[202:203], v[136:139]// 000000003B00: D3D70088 0E23951A
	buffer_load_dwordx4 a[148:151], v35, s[24:27], 0 offen offset:1024// 000000003B08: E05C1400 80869423
	v_mfma_i32_16x16x32_i8 v[136:139], a[28:29], v[204:205], v[136:139]// 000000003B10: D3D70088 0E23991C
	v_mfma_i32_16x16x32_i8 v[136:139], a[30:31], v[206:207], v[136:139]// 000000003B18: D3D70088 0E239D1E
	buffer_load_dword v31, s[20:23], 0 offen lds               // 000000003B20: E0511000 8005001F
	s_add_u32 m0, 0x600, s50                                   // 000000003B28: 807C32FF 00000600
	v_mfma_i32_16x16x32_i8 v[140:143], a[16:17], v[208:209], v[140:143]// 000000003B30: D3D7008C 0E33A110
	v_mfma_i32_16x16x32_i8 v[140:143], a[18:19], v[210:211], v[140:143]// 000000003B38: D3D7008C 0E33A512
	buffer_load_dwordx4 a[152:155], v35, s[24:27], 0 offen offset:2048// 000000003B40: E05C1800 80869823
	v_mfma_i32_16x16x32_i8 v[140:143], a[20:21], v[212:213], v[140:143]// 000000003B48: D3D7008C 0E33A914
	v_mfma_i32_16x16x32_i8 v[140:143], a[22:23], v[214:215], v[140:143]// 000000003B50: D3D7008C 0E33AD16
	buffer_load_dword v32, s[20:23], 0 offen lds               // 000000003B58: E0511000 80050020
	s_add_u32 m0, 0x700, s50                                   // 000000003B60: 807C32FF 00000700
	v_mfma_i32_16x16x32_i8 v[140:143], a[24:25], v[216:217], v[140:143]// 000000003B68: D3D7008C 0E33B118
	v_mfma_i32_16x16x32_i8 v[140:143], a[26:27], v[218:219], v[140:143]// 000000003B70: D3D7008C 0E33B51A
	buffer_load_dwordx4 a[156:159], v35, s[24:27], 0 offen offset:3072// 000000003B78: E05C1C00 80869C23
	v_mfma_i32_16x16x32_i8 v[140:143], a[28:29], v[220:221], v[140:143]// 000000003B80: D3D7008C 0E33B91C
	v_mfma_i32_16x16x32_i8 v[140:143], a[30:31], v[222:223], v[140:143]// 000000003B88: D3D7008C 0E33BD1E
	buffer_load_dword v33, s[20:23], 0 offen lds               // 000000003B90: E0511000 80050021
	s_add_u32 m0, 0, s51                                       // 000000003B98: 807C3380
	s_waitcnt vmcnt(36)                                        // 000000003B9C: BF8C8F74
	v_mfma_i32_16x16x32_i8 v[144:147], a[32:33], v[192:193], v[144:147]// 000000003BA0: D3D70090 0E438120
	v_mfma_i32_16x16x32_i8 v[144:147], a[34:35], v[194:195], v[144:147]// 000000003BA8: D3D70090 0E438522
	buffer_load_dwordx4 a[160:163], v36, s[24:27], 0 offen     // 000000003BB0: E05C1000 8086A024
	v_mfma_i32_16x16x32_i8 v[144:147], a[36:37], v[196:197], v[144:147]// 000000003BB8: D3D70090 0E438924
	v_mfma_i32_16x16x32_i8 v[144:147], a[38:39], v[198:199], v[144:147]// 000000003BC0: D3D70090 0E438D26
	ds_read_b128 v[224:227], v2 offset:8320                    // 000000003BC8: D9FE2080 E0000002
	v_mfma_i32_16x16x32_i8 v[144:147], a[40:41], v[200:201], v[144:147]// 000000003BD0: D3D70090 0E439128
	v_mfma_i32_16x16x32_i8 v[144:147], a[42:43], v[202:203], v[144:147]// 000000003BD8: D3D70090 0E43952A
	buffer_load_dwordx4 a[164:167], v36, s[24:27], 0 offen offset:1024// 000000003BE0: E05C1400 8086A424
	v_mfma_i32_16x16x32_i8 v[144:147], a[44:45], v[204:205], v[144:147]// 000000003BE8: D3D70090 0E43992C
	v_mfma_i32_16x16x32_i8 v[144:147], a[46:47], v[206:207], v[144:147]// 000000003BF0: D3D70090 0E439D2E
	ds_read_b128 v[228:231], v2 offset:8384                    // 000000003BF8: D9FE20C0 E4000002
	v_mfma_i32_16x16x32_i8 v[148:151], a[32:33], v[208:209], v[148:151]// 000000003C00: D3D70094 0E53A120
	v_mfma_i32_16x16x32_i8 v[148:151], a[34:35], v[210:211], v[148:151]// 000000003C08: D3D70094 0E53A522
	buffer_load_dwordx4 a[168:171], v36, s[24:27], 0 offen offset:2048// 000000003C10: E05C1800 8086A824
	v_mfma_i32_16x16x32_i8 v[148:151], a[36:37], v[212:213], v[148:151]// 000000003C18: D3D70094 0E53A924
	v_mfma_i32_16x16x32_i8 v[148:151], a[38:39], v[214:215], v[148:151]// 000000003C20: D3D70094 0E53AD26
	ds_read_b128 v[232:235], v2 offset:8448                    // 000000003C28: D9FE2100 E8000002
	v_mfma_i32_16x16x32_i8 v[148:151], a[40:41], v[216:217], v[148:151]// 000000003C30: D3D70094 0E53B128
	v_mfma_i32_16x16x32_i8 v[148:151], a[42:43], v[218:219], v[148:151]// 000000003C38: D3D70094 0E53B52A
	buffer_load_dwordx4 a[172:175], v36, s[24:27], 0 offen offset:3072// 000000003C40: E05C1C00 8086AC24
	v_mfma_i32_16x16x32_i8 v[148:151], a[44:45], v[220:221], v[148:151]// 000000003C48: D3D70094 0E53B92C
	v_mfma_i32_16x16x32_i8 v[148:151], a[46:47], v[222:223], v[148:151]// 000000003C50: D3D70094 0E53BD2E
	ds_read_b128 v[236:239], v2 offset:8512                    // 000000003C58: D9FE2140 EC000002
	s_waitcnt vmcnt(36)                                        // 000000003C60: BF8C8F74
	v_mfma_i32_16x16x32_i8 v[152:155], a[48:49], v[192:193], v[152:155]// 000000003C64: D3D70098 0E638130
	v_mfma_i32_16x16x32_i8 v[152:155], a[50:51], v[194:195], v[152:155]// 000000003C6C: D3D70098 0E638532
	buffer_load_dwordx4 a[176:179], v37, s[24:27], 0 offen     // 000000003C74: E05C1000 8086B025
	v_mfma_i32_16x16x32_i8 v[152:155], a[52:53], v[196:197], v[152:155]// 000000003C7C: D3D70098 0E638934
	v_mfma_i32_16x16x32_i8 v[152:155], a[54:55], v[198:199], v[152:155]// 000000003C84: D3D70098 0E638D36
	ds_read_b128 v[240:243], v2 offset:9344                    // 000000003C8C: D9FE2480 F0000002
	v_mfma_i32_16x16x32_i8 v[152:155], a[56:57], v[200:201], v[152:155]// 000000003C94: D3D70098 0E639138
	v_mfma_i32_16x16x32_i8 v[152:155], a[58:59], v[202:203], v[152:155]// 000000003C9C: D3D70098 0E63953A
	buffer_load_dwordx4 a[180:183], v37, s[24:27], 0 offen offset:1024// 000000003CA4: E05C1400 8086B425
	v_mfma_i32_16x16x32_i8 v[152:155], a[60:61], v[204:205], v[152:155]// 000000003CAC: D3D70098 0E63993C
	v_mfma_i32_16x16x32_i8 v[152:155], a[62:63], v[206:207], v[152:155]// 000000003CB4: D3D70098 0E639D3E
	ds_read_b128 v[244:247], v2 offset:9408                    // 000000003CBC: D9FE24C0 F4000002
	v_mfma_i32_16x16x32_i8 v[156:159], a[48:49], v[208:209], v[156:159]// 000000003CC4: D3D7009C 0E73A130
	v_mfma_i32_16x16x32_i8 v[156:159], a[50:51], v[210:211], v[156:159]// 000000003CCC: D3D7009C 0E73A532
	buffer_load_dwordx4 a[184:187], v37, s[24:27], 0 offen offset:2048// 000000003CD4: E05C1800 8086B825
	v_mfma_i32_16x16x32_i8 v[156:159], a[52:53], v[212:213], v[156:159]// 000000003CDC: D3D7009C 0E73A934
	v_mfma_i32_16x16x32_i8 v[156:159], a[54:55], v[214:215], v[156:159]// 000000003CE4: D3D7009C 0E73AD36
	ds_read_b128 v[248:251], v2 offset:9472                    // 000000003CEC: D9FE2500 F8000002
	v_mfma_i32_16x16x32_i8 v[156:159], a[56:57], v[216:217], v[156:159]// 000000003CF4: D3D7009C 0E73B138
	v_mfma_i32_16x16x32_i8 v[156:159], a[58:59], v[218:219], v[156:159]// 000000003CFC: D3D7009C 0E73B53A
	buffer_load_dwordx4 a[188:191], v37, s[24:27], 0 offen offset:3072// 000000003D04: E05C1C00 8086BC25
	v_mfma_i32_16x16x32_i8 v[156:159], a[60:61], v[220:221], v[156:159]// 000000003D0C: D3D7009C 0E73B93C
	v_mfma_i32_16x16x32_i8 v[156:159], a[62:63], v[222:223], v[156:159]// 000000003D14: D3D7009C 0E73BD3E
	ds_read_b128 v[252:255], v2 offset:9536                    // 000000003D1C: D9FE2540 FC000002
	s_waitcnt vmcnt(36)                                        // 000000003D24: BF8C8F74
	v_mfma_i32_16x16x32_i8 v[160:163], a[64:65], v[192:193], v[160:163]// 000000003D28: D3D700A0 0E838140
	v_mfma_i32_16x16x32_i8 v[160:163], a[66:67], v[194:195], v[160:163]// 000000003D30: D3D700A0 0E838542
	buffer_load_dwordx4 a[192:195], v38, s[24:27], 0 offen     // 000000003D38: E05C1000 8086C026
	v_mfma_i32_16x16x32_i8 v[160:163], a[68:69], v[196:197], v[160:163]// 000000003D40: D3D700A0 0E838944
	v_mfma_i32_16x16x32_i8 v[160:163], a[70:71], v[198:199], v[160:163]// 000000003D48: D3D700A0 0E838D46
	v_mfma_i32_16x16x32_i8 v[160:163], a[72:73], v[200:201], v[160:163]// 000000003D50: D3D700A0 0E839148
	v_mfma_i32_16x16x32_i8 v[160:163], a[74:75], v[202:203], v[160:163]// 000000003D58: D3D700A0 0E83954A
	buffer_load_dwordx4 a[196:199], v38, s[24:27], 0 offen offset:1024// 000000003D60: E05C1400 8086C426
	v_mfma_i32_16x16x32_i8 v[160:163], a[76:77], v[204:205], v[160:163]// 000000003D68: D3D700A0 0E83994C
	v_mfma_i32_16x16x32_i8 v[160:163], a[78:79], v[206:207], v[160:163]// 000000003D70: D3D700A0 0E839D4E
	v_mfma_i32_16x16x32_i8 v[164:167], a[64:65], v[208:209], v[164:167]// 000000003D78: D3D700A4 0E93A140
	v_mfma_i32_16x16x32_i8 v[164:167], a[66:67], v[210:211], v[164:167]// 000000003D80: D3D700A4 0E93A542
	buffer_load_dwordx4 a[200:203], v38, s[24:27], 0 offen offset:2048// 000000003D88: E05C1800 8086C826
	v_mfma_i32_16x16x32_i8 v[164:167], a[68:69], v[212:213], v[164:167]// 000000003D90: D3D700A4 0E93A944
	v_mfma_i32_16x16x32_i8 v[164:167], a[70:71], v[214:215], v[164:167]// 000000003D98: D3D700A4 0E93AD46
	v_mfma_i32_16x16x32_i8 v[164:167], a[72:73], v[216:217], v[164:167]// 000000003DA0: D3D700A4 0E93B148
	v_mfma_i32_16x16x32_i8 v[164:167], a[74:75], v[218:219], v[164:167]// 000000003DA8: D3D700A4 0E93B54A
	buffer_load_dwordx4 a[204:207], v38, s[24:27], 0 offen offset:3072// 000000003DB0: E05C1C00 8086CC26
	v_mfma_i32_16x16x32_i8 v[164:167], a[76:77], v[220:221], v[164:167]// 000000003DB8: D3D700A4 0E93B94C
	v_mfma_i32_16x16x32_i8 v[164:167], a[78:79], v[222:223], v[164:167]// 000000003DC0: D3D700A4 0E93BD4E
	s_waitcnt vmcnt(36)                                        // 000000003DC8: BF8C8F74
	v_mfma_i32_16x16x32_i8 v[168:171], a[80:81], v[192:193], v[168:171]// 000000003DCC: D3D700A8 0EA38150
	v_mfma_i32_16x16x32_i8 v[168:171], a[82:83], v[194:195], v[168:171]// 000000003DD4: D3D700A8 0EA38552
	buffer_load_dwordx4 a[208:211], v39, s[24:27], 0 offen     // 000000003DDC: E05C1000 8086D027
	v_mfma_i32_16x16x32_i8 v[168:171], a[84:85], v[196:197], v[168:171]// 000000003DE4: D3D700A8 0EA38954
	v_mfma_i32_16x16x32_i8 v[168:171], a[86:87], v[198:199], v[168:171]// 000000003DEC: D3D700A8 0EA38D56
	v_mfma_i32_16x16x32_i8 v[168:171], a[88:89], v[200:201], v[168:171]// 000000003DF4: D3D700A8 0EA39158
	v_mfma_i32_16x16x32_i8 v[168:171], a[90:91], v[202:203], v[168:171]// 000000003DFC: D3D700A8 0EA3955A
	buffer_load_dwordx4 a[212:215], v39, s[24:27], 0 offen offset:1024// 000000003E04: E05C1400 8086D427
	v_mfma_i32_16x16x32_i8 v[168:171], a[92:93], v[204:205], v[168:171]// 000000003E0C: D3D700A8 0EA3995C
	v_mfma_i32_16x16x32_i8 v[168:171], a[94:95], v[206:207], v[168:171]// 000000003E14: D3D700A8 0EA39D5E
	v_mfma_i32_16x16x32_i8 v[172:175], a[80:81], v[208:209], v[172:175]// 000000003E1C: D3D700AC 0EB3A150
	v_mfma_i32_16x16x32_i8 v[172:175], a[82:83], v[210:211], v[172:175]// 000000003E24: D3D700AC 0EB3A552
	buffer_load_dwordx4 a[216:219], v39, s[24:27], 0 offen offset:2048// 000000003E2C: E05C1800 8086D827
	v_mfma_i32_16x16x32_i8 v[172:175], a[84:85], v[212:213], v[172:175]// 000000003E34: D3D700AC 0EB3A954
	v_mfma_i32_16x16x32_i8 v[172:175], a[86:87], v[214:215], v[172:175]// 000000003E3C: D3D700AC 0EB3AD56
	v_mfma_i32_16x16x32_i8 v[172:175], a[88:89], v[216:217], v[172:175]// 000000003E44: D3D700AC 0EB3B158
	v_mfma_i32_16x16x32_i8 v[172:175], a[90:91], v[218:219], v[172:175]// 000000003E4C: D3D700AC 0EB3B55A
	buffer_load_dwordx4 a[220:223], v39, s[24:27], 0 offen offset:3072// 000000003E54: E05C1C00 8086DC27
	v_mfma_i32_16x16x32_i8 v[172:175], a[92:93], v[220:221], v[172:175]// 000000003E5C: D3D700AC 0EB3B95C
	v_mfma_i32_16x16x32_i8 v[172:175], a[94:95], v[222:223], v[172:175]// 000000003E64: D3D700AC 0EB3BD5E
	s_waitcnt vmcnt(36)                                        // 000000003E6C: BF8C8F74
	v_mfma_i32_16x16x32_i8 v[176:179], a[96:97], v[192:193], v[176:179]// 000000003E70: D3D700B0 0EC38160
	v_mfma_i32_16x16x32_i8 v[176:179], a[98:99], v[194:195], v[176:179]// 000000003E78: D3D700B0 0EC38562
	buffer_load_dwordx4 a[224:227], v40, s[24:27], 0 offen     // 000000003E80: E05C1000 8086E028
	v_mfma_i32_16x16x32_i8 v[176:179], a[100:101], v[196:197], v[176:179]// 000000003E88: D3D700B0 0EC38964
	v_mfma_i32_16x16x32_i8 v[176:179], a[102:103], v[198:199], v[176:179]// 000000003E90: D3D700B0 0EC38D66
	v_mfma_i32_16x16x32_i8 v[176:179], a[104:105], v[200:201], v[176:179]// 000000003E98: D3D700B0 0EC39168
	v_mfma_i32_16x16x32_i8 v[176:179], a[106:107], v[202:203], v[176:179]// 000000003EA0: D3D700B0 0EC3956A
	buffer_load_dwordx4 a[228:231], v40, s[24:27], 0 offen offset:1024// 000000003EA8: E05C1400 8086E428
	v_mfma_i32_16x16x32_i8 v[176:179], a[108:109], v[204:205], v[176:179]// 000000003EB0: D3D700B0 0EC3996C
	v_mfma_i32_16x16x32_i8 v[176:179], a[110:111], v[206:207], v[176:179]// 000000003EB8: D3D700B0 0EC39D6E
	v_mfma_i32_16x16x32_i8 v[180:183], a[96:97], v[208:209], v[180:183]// 000000003EC0: D3D700B4 0ED3A160
	v_mfma_i32_16x16x32_i8 v[180:183], a[98:99], v[210:211], v[180:183]// 000000003EC8: D3D700B4 0ED3A562
	buffer_load_dwordx4 a[232:235], v40, s[24:27], 0 offen offset:2048// 000000003ED0: E05C1800 8086E828
	v_mfma_i32_16x16x32_i8 v[180:183], a[100:101], v[212:213], v[180:183]// 000000003ED8: D3D700B4 0ED3A964
	v_mfma_i32_16x16x32_i8 v[180:183], a[102:103], v[214:215], v[180:183]// 000000003EE0: D3D700B4 0ED3AD66
	v_mfma_i32_16x16x32_i8 v[180:183], a[104:105], v[216:217], v[180:183]// 000000003EE8: D3D700B4 0ED3B168
	v_mfma_i32_16x16x32_i8 v[180:183], a[106:107], v[218:219], v[180:183]// 000000003EF0: D3D700B4 0ED3B56A
	buffer_load_dwordx4 a[236:239], v40, s[24:27], 0 offen offset:3072// 000000003EF8: E05C1C00 8086EC28
	v_mfma_i32_16x16x32_i8 v[180:183], a[108:109], v[220:221], v[180:183]// 000000003F00: D3D700B4 0ED3B96C
	v_mfma_i32_16x16x32_i8 v[180:183], a[110:111], v[222:223], v[180:183]// 000000003F08: D3D700B4 0ED3BD6E
	s_waitcnt vmcnt(36)                                        // 000000003F10: BF8C8F74
	v_mfma_i32_16x16x32_i8 v[184:187], a[112:113], v[192:193], v[184:187]// 000000003F14: D3D700B8 0EE38170
	v_mfma_i32_16x16x32_i8 v[184:187], a[114:115], v[194:195], v[184:187]// 000000003F1C: D3D700B8 0EE38572
	buffer_load_dwordx4 a[240:243], v41, s[24:27], 0 offen     // 000000003F24: E05C1000 8086F029
	v_mfma_i32_16x16x32_i8 v[184:187], a[116:117], v[196:197], v[184:187]// 000000003F2C: D3D700B8 0EE38974
	v_mfma_i32_16x16x32_i8 v[184:187], a[118:119], v[198:199], v[184:187]// 000000003F34: D3D700B8 0EE38D76
	v_mfma_i32_16x16x32_i8 v[184:187], a[120:121], v[200:201], v[184:187]// 000000003F3C: D3D700B8 0EE39178
	v_mfma_i32_16x16x32_i8 v[184:187], a[122:123], v[202:203], v[184:187]// 000000003F44: D3D700B8 0EE3957A
	buffer_load_dwordx4 a[244:247], v41, s[24:27], 0 offen offset:1024// 000000003F4C: E05C1400 8086F429
	v_mfma_i32_16x16x32_i8 v[184:187], a[124:125], v[204:205], v[184:187]// 000000003F54: D3D700B8 0EE3997C
	v_mfma_i32_16x16x32_i8 v[184:187], a[126:127], v[206:207], v[184:187]// 000000003F5C: D3D700B8 0EE39D7E
	v_mfma_i32_16x16x32_i8 v[188:191], a[112:113], v[208:209], v[188:191]// 000000003F64: D3D700BC 0EF3A170
	v_mfma_i32_16x16x32_i8 v[188:191], a[114:115], v[210:211], v[188:191]// 000000003F6C: D3D700BC 0EF3A572
	buffer_load_dwordx4 a[248:251], v41, s[24:27], 0 offen offset:2048// 000000003F74: E05C1800 8086F829
	v_mfma_i32_16x16x32_i8 v[188:191], a[116:117], v[212:213], v[188:191]// 000000003F7C: D3D700BC 0EF3A974
	v_mfma_i32_16x16x32_i8 v[188:191], a[118:119], v[214:215], v[188:191]// 000000003F84: D3D700BC 0EF3AD76
	v_mfma_i32_16x16x32_i8 v[188:191], a[120:121], v[216:217], v[188:191]// 000000003F8C: D3D700BC 0EF3B178
	v_mfma_i32_16x16x32_i8 v[188:191], a[122:123], v[218:219], v[188:191]// 000000003F94: D3D700BC 0EF3B57A
	buffer_load_dwordx4 a[252:255], v41, s[24:27], 0 offen offset:3072// 000000003F9C: E05C1C00 8086FC29
	v_mfma_i32_16x16x32_i8 v[188:191], a[124:125], v[220:221], v[188:191]// 000000003FA4: D3D700BC 0EF3B97C
	v_mfma_i32_16x16x32_i8 v[188:191], a[126:127], v[222:223], v[188:191]// 000000003FAC: D3D700BC 0EF3BD7E
	s_add_u32 s60, 0x300, s80                                  // 000000003FB4: 803C50FF 00000300
	s_cmp_lt_u32 s60, s81                                      // 000000003FBC: BF0A513C
	s_cselect_b32 s57, s57, 0                                  // 000000003FC0: 85398039
	s_add_u32 s60, 0x200, s80                                  // 000000003FC4: 803C50FF 00000200
	s_cmp_lt_u32 s60, s81                                      // 000000003FCC: BF0A513C
	s_cselect_b32 s58, s58, 0                                  // 000000003FD0: 853A803A
	s_add_u32 s20, s57, s20                                    // 000000003FD4: 80141439
	s_addc_u32 s21, 0, s21                                     // 000000003FD8: 82151580
	s_add_u32 s24, s58, s24                                    // 000000003FDC: 8018183A
	s_addc_u32 s25, 0, s25                                     // 000000003FE0: 82191980
	s_addk_i32 s80, 0x100                                      // 000000003FE4: B7500100
	s_cmp_lt_i32 s80, s81                                      // 000000003FE8: BF045150
	s_cbranch_scc0 label_0603                                  // 000000003FEC: BF840187
	s_waitcnt vmcnt(24) lgkmcnt(0)                             // 000000003FF0: BF8C4078
	s_barrier                                                  // 000000003FF4: BF8A0000
	v_mfma_i32_16x16x32_i8 v[128:131], a[128:129], v[224:225], v[128:131]// 000000003FF8: D3D70080 0E03C180
	v_mfma_i32_16x16x32_i8 v[128:131], a[130:131], v[226:227], v[128:131]// 000000004000: D3D70080 0E03C582
	buffer_load_dwordx4 a[0:3], v34, s[24:27], 0 offen         // 000000004008: E05C1000 80860022
	v_mfma_i32_16x16x32_i8 v[128:131], a[132:133], v[228:229], v[128:131]// 000000004010: D3D70080 0E03C984
	v_mfma_i32_16x16x32_i8 v[128:131], a[134:135], v[230:231], v[128:131]// 000000004018: D3D70080 0E03CD86
	buffer_load_dword v26, s[20:23], 0 offen lds               // 000000004020: E0511000 8005001A
	s_add_u32 m0, 0x100, s51                                   // 000000004028: 807C33FF 00000100
	v_mfma_i32_16x16x32_i8 v[128:131], a[136:137], v[232:233], v[128:131]// 000000004030: D3D70080 0E03D188
	v_mfma_i32_16x16x32_i8 v[128:131], a[138:139], v[234:235], v[128:131]// 000000004038: D3D70080 0E03D58A
	buffer_load_dwordx4 a[4:7], v34, s[24:27], 0 offen offset:1024// 000000004040: E05C1400 80860422
	v_mfma_i32_16x16x32_i8 v[128:131], a[140:141], v[236:237], v[128:131]// 000000004048: D3D70080 0E03D98C
	v_mfma_i32_16x16x32_i8 v[128:131], a[142:143], v[238:239], v[128:131]// 000000004050: D3D70080 0E03DD8E
	buffer_load_dword v27, s[20:23], 0 offen lds               // 000000004058: E0511000 8005001B
	s_add_u32 m0, 0x200, s51                                   // 000000004060: 807C33FF 00000200
	v_mfma_i32_16x16x32_i8 v[132:135], a[128:129], v[240:241], v[132:135]// 000000004068: D3D70084 0E13E180
	v_mfma_i32_16x16x32_i8 v[132:135], a[130:131], v[242:243], v[132:135]// 000000004070: D3D70084 0E13E582
	buffer_load_dwordx4 a[8:11], v34, s[24:27], 0 offen offset:2048// 000000004078: E05C1800 80860822
	v_mfma_i32_16x16x32_i8 v[132:135], a[132:133], v[244:245], v[132:135]// 000000004080: D3D70084 0E13E984
	v_mfma_i32_16x16x32_i8 v[132:135], a[134:135], v[246:247], v[132:135]// 000000004088: D3D70084 0E13ED86
	buffer_load_dword v28, s[20:23], 0 offen lds               // 000000004090: E0511000 8005001C
	s_add_u32 m0, 0x300, s51                                   // 000000004098: 807C33FF 00000300
	v_mfma_i32_16x16x32_i8 v[132:135], a[136:137], v[248:249], v[132:135]// 0000000040A0: D3D70084 0E13F188
	v_mfma_i32_16x16x32_i8 v[132:135], a[138:139], v[250:251], v[132:135]// 0000000040A8: D3D70084 0E13F58A
	buffer_load_dwordx4 a[12:15], v34, s[24:27], 0 offen offset:3072// 0000000040B0: E05C1C00 80860C22
	v_mfma_i32_16x16x32_i8 v[132:135], a[140:141], v[252:253], v[132:135]// 0000000040B8: D3D70084 0E13F98C
	v_mfma_i32_16x16x32_i8 v[132:135], a[142:143], v[254:255], v[132:135]// 0000000040C0: D3D70084 0E13FD8E
	buffer_load_dword v29, s[20:23], 0 offen lds               // 0000000040C8: E0511000 8005001D
	s_add_u32 m0, 0x400, s51                                   // 0000000040D0: 807C33FF 00000400
	v_mfma_i32_16x16x32_i8 v[136:139], a[144:145], v[224:225], v[136:139]// 0000000040D8: D3D70088 0E23C190
	v_mfma_i32_16x16x32_i8 v[136:139], a[146:147], v[226:227], v[136:139]// 0000000040E0: D3D70088 0E23C592
	buffer_load_dwordx4 a[16:19], v35, s[24:27], 0 offen       // 0000000040E8: E05C1000 80861023
	v_mfma_i32_16x16x32_i8 v[136:139], a[148:149], v[228:229], v[136:139]// 0000000040F0: D3D70088 0E23C994
	v_mfma_i32_16x16x32_i8 v[136:139], a[150:151], v[230:231], v[136:139]// 0000000040F8: D3D70088 0E23CD96
	buffer_load_dword v30, s[20:23], 0 offen lds               // 000000004100: E0511000 8005001E
	s_add_u32 m0, 0x500, s51                                   // 000000004108: 807C33FF 00000500
	v_mfma_i32_16x16x32_i8 v[136:139], a[152:153], v[232:233], v[136:139]// 000000004110: D3D70088 0E23D198
	v_mfma_i32_16x16x32_i8 v[136:139], a[154:155], v[234:235], v[136:139]// 000000004118: D3D70088 0E23D59A
	buffer_load_dwordx4 a[20:23], v35, s[24:27], 0 offen offset:1024// 000000004120: E05C1400 80861423
	v_mfma_i32_16x16x32_i8 v[136:139], a[156:157], v[236:237], v[136:139]// 000000004128: D3D70088 0E23D99C
	v_mfma_i32_16x16x32_i8 v[136:139], a[158:159], v[238:239], v[136:139]// 000000004130: D3D70088 0E23DD9E
	buffer_load_dword v31, s[20:23], 0 offen lds               // 000000004138: E0511000 8005001F
	s_add_u32 m0, 0x600, s51                                   // 000000004140: 807C33FF 00000600
	v_mfma_i32_16x16x32_i8 v[140:143], a[144:145], v[240:241], v[140:143]// 000000004148: D3D7008C 0E33E190
	v_mfma_i32_16x16x32_i8 v[140:143], a[146:147], v[242:243], v[140:143]// 000000004150: D3D7008C 0E33E592
	buffer_load_dwordx4 a[24:27], v35, s[24:27], 0 offen offset:2048// 000000004158: E05C1800 80861823
	v_mfma_i32_16x16x32_i8 v[140:143], a[148:149], v[244:245], v[140:143]// 000000004160: D3D7008C 0E33E994
	v_mfma_i32_16x16x32_i8 v[140:143], a[150:151], v[246:247], v[140:143]// 000000004168: D3D7008C 0E33ED96
	buffer_load_dword v32, s[20:23], 0 offen lds               // 000000004170: E0511000 80050020
	s_add_u32 m0, 0x700, s51                                   // 000000004178: 807C33FF 00000700
	v_mfma_i32_16x16x32_i8 v[140:143], a[152:153], v[248:249], v[140:143]// 000000004180: D3D7008C 0E33F198
	v_mfma_i32_16x16x32_i8 v[140:143], a[154:155], v[250:251], v[140:143]// 000000004188: D3D7008C 0E33F59A
	buffer_load_dwordx4 a[28:31], v35, s[24:27], 0 offen offset:3072// 000000004190: E05C1C00 80861C23
	v_mfma_i32_16x16x32_i8 v[140:143], a[156:157], v[252:253], v[140:143]// 000000004198: D3D7008C 0E33F99C
	v_mfma_i32_16x16x32_i8 v[140:143], a[158:159], v[254:255], v[140:143]// 0000000041A0: D3D7008C 0E33FD9E
	buffer_load_dword v33, s[20:23], 0 offen lds               // 0000000041A8: E0511000 80050021
	s_add_u32 m0, 0, s50                                       // 0000000041B0: 807C3280
	s_waitcnt vmcnt(36)                                        // 0000000041B4: BF8C8F74
	v_mfma_i32_16x16x32_i8 v[144:147], a[160:161], v[224:225], v[144:147]// 0000000041B8: D3D70090 0E43C1A0
	v_mfma_i32_16x16x32_i8 v[144:147], a[162:163], v[226:227], v[144:147]// 0000000041C0: D3D70090 0E43C5A2
	buffer_load_dwordx4 a[32:35], v36, s[24:27], 0 offen       // 0000000041C8: E05C1000 80862024
	v_mfma_i32_16x16x32_i8 v[144:147], a[164:165], v[228:229], v[144:147]// 0000000041D0: D3D70090 0E43C9A4
	v_mfma_i32_16x16x32_i8 v[144:147], a[166:167], v[230:231], v[144:147]// 0000000041D8: D3D70090 0E43CDA6
	ds_read_b128 v[192:195], v2                                // 0000000041E0: D9FE0000 C0000002
	v_mfma_i32_16x16x32_i8 v[144:147], a[168:169], v[232:233], v[144:147]// 0000000041E8: D3D70090 0E43D1A8
	v_mfma_i32_16x16x32_i8 v[144:147], a[170:171], v[234:235], v[144:147]// 0000000041F0: D3D70090 0E43D5AA
	buffer_load_dwordx4 a[36:39], v36, s[24:27], 0 offen offset:1024// 0000000041F8: E05C1400 80862424
	v_mfma_i32_16x16x32_i8 v[144:147], a[172:173], v[236:237], v[144:147]// 000000004200: D3D70090 0E43D9AC
	v_mfma_i32_16x16x32_i8 v[144:147], a[174:175], v[238:239], v[144:147]// 000000004208: D3D70090 0E43DDAE
	ds_read_b128 v[196:199], v2 offset:64                      // 000000004210: D9FE0040 C4000002
	v_mfma_i32_16x16x32_i8 v[148:151], a[160:161], v[240:241], v[148:151]// 000000004218: D3D70094 0E53E1A0
	v_mfma_i32_16x16x32_i8 v[148:151], a[162:163], v[242:243], v[148:151]// 000000004220: D3D70094 0E53E5A2
	buffer_load_dwordx4 a[40:43], v36, s[24:27], 0 offen offset:2048// 000000004228: E05C1800 80862824
	v_mfma_i32_16x16x32_i8 v[148:151], a[164:165], v[244:245], v[148:151]// 000000004230: D3D70094 0E53E9A4
	v_mfma_i32_16x16x32_i8 v[148:151], a[166:167], v[246:247], v[148:151]// 000000004238: D3D70094 0E53EDA6
	ds_read_b128 v[200:203], v2 offset:128                     // 000000004240: D9FE0080 C8000002
	v_mfma_i32_16x16x32_i8 v[148:151], a[168:169], v[248:249], v[148:151]// 000000004248: D3D70094 0E53F1A8
	v_mfma_i32_16x16x32_i8 v[148:151], a[170:171], v[250:251], v[148:151]// 000000004250: D3D70094 0E53F5AA
	buffer_load_dwordx4 a[44:47], v36, s[24:27], 0 offen offset:3072// 000000004258: E05C1C00 80862C24
	v_mfma_i32_16x16x32_i8 v[148:151], a[172:173], v[252:253], v[148:151]// 000000004260: D3D70094 0E53F9AC
	v_mfma_i32_16x16x32_i8 v[148:151], a[174:175], v[254:255], v[148:151]// 000000004268: D3D70094 0E53FDAE
	ds_read_b128 v[204:207], v2 offset:192                     // 000000004270: D9FE00C0 CC000002
	s_waitcnt vmcnt(36)                                        // 000000004278: BF8C8F74
	v_mfma_i32_16x16x32_i8 v[152:155], a[176:177], v[224:225], v[152:155]// 00000000427C: D3D70098 0E63C1B0
	v_mfma_i32_16x16x32_i8 v[152:155], a[178:179], v[226:227], v[152:155]// 000000004284: D3D70098 0E63C5B2
	buffer_load_dwordx4 a[48:51], v37, s[24:27], 0 offen       // 00000000428C: E05C1000 80863025
	v_mfma_i32_16x16x32_i8 v[152:155], a[180:181], v[228:229], v[152:155]// 000000004294: D3D70098 0E63C9B4
	v_mfma_i32_16x16x32_i8 v[152:155], a[182:183], v[230:231], v[152:155]// 00000000429C: D3D70098 0E63CDB6
	ds_read_b128 v[208:211], v2 offset:1024                    // 0000000042A4: D9FE0400 D0000002
	v_mfma_i32_16x16x32_i8 v[152:155], a[184:185], v[232:233], v[152:155]// 0000000042AC: D3D70098 0E63D1B8
	v_mfma_i32_16x16x32_i8 v[152:155], a[186:187], v[234:235], v[152:155]// 0000000042B4: D3D70098 0E63D5BA
	buffer_load_dwordx4 a[52:55], v37, s[24:27], 0 offen offset:1024// 0000000042BC: E05C1400 80863425
	v_mfma_i32_16x16x32_i8 v[152:155], a[188:189], v[236:237], v[152:155]// 0000000042C4: D3D70098 0E63D9BC
	v_mfma_i32_16x16x32_i8 v[152:155], a[190:191], v[238:239], v[152:155]// 0000000042CC: D3D70098 0E63DDBE
	ds_read_b128 v[212:215], v2 offset:1088                    // 0000000042D4: D9FE0440 D4000002
	v_mfma_i32_16x16x32_i8 v[156:159], a[176:177], v[240:241], v[156:159]// 0000000042DC: D3D7009C 0E73E1B0
	v_mfma_i32_16x16x32_i8 v[156:159], a[178:179], v[242:243], v[156:159]// 0000000042E4: D3D7009C 0E73E5B2
	buffer_load_dwordx4 a[56:59], v37, s[24:27], 0 offen offset:2048// 0000000042EC: E05C1800 80863825
	v_mfma_i32_16x16x32_i8 v[156:159], a[180:181], v[244:245], v[156:159]// 0000000042F4: D3D7009C 0E73E9B4
	v_mfma_i32_16x16x32_i8 v[156:159], a[182:183], v[246:247], v[156:159]// 0000000042FC: D3D7009C 0E73EDB6
	ds_read_b128 v[216:219], v2 offset:1152                    // 000000004304: D9FE0480 D8000002
	v_mfma_i32_16x16x32_i8 v[156:159], a[184:185], v[248:249], v[156:159]// 00000000430C: D3D7009C 0E73F1B8
	v_mfma_i32_16x16x32_i8 v[156:159], a[186:187], v[250:251], v[156:159]// 000000004314: D3D7009C 0E73F5BA
	buffer_load_dwordx4 a[60:63], v37, s[24:27], 0 offen offset:3072// 00000000431C: E05C1C00 80863C25
	v_mfma_i32_16x16x32_i8 v[156:159], a[188:189], v[252:253], v[156:159]// 000000004324: D3D7009C 0E73F9BC
	v_mfma_i32_16x16x32_i8 v[156:159], a[190:191], v[254:255], v[156:159]// 00000000432C: D3D7009C 0E73FDBE
	ds_read_b128 v[220:223], v2 offset:1216                    // 000000004334: D9FE04C0 DC000002
	s_waitcnt vmcnt(36)                                        // 00000000433C: BF8C8F74
	v_mfma_i32_16x16x32_i8 v[160:163], a[192:193], v[224:225], v[160:163]// 000000004340: D3D700A0 0E83C1C0
	v_mfma_i32_16x16x32_i8 v[160:163], a[194:195], v[226:227], v[160:163]// 000000004348: D3D700A0 0E83C5C2
	buffer_load_dwordx4 a[64:67], v38, s[24:27], 0 offen       // 000000004350: E05C1000 80864026
	v_mfma_i32_16x16x32_i8 v[160:163], a[196:197], v[228:229], v[160:163]// 000000004358: D3D700A0 0E83C9C4
	v_mfma_i32_16x16x32_i8 v[160:163], a[198:199], v[230:231], v[160:163]// 000000004360: D3D700A0 0E83CDC6
	v_mfma_i32_16x16x32_i8 v[160:163], a[200:201], v[232:233], v[160:163]// 000000004368: D3D700A0 0E83D1C8
	v_mfma_i32_16x16x32_i8 v[160:163], a[202:203], v[234:235], v[160:163]// 000000004370: D3D700A0 0E83D5CA
	buffer_load_dwordx4 a[68:71], v38, s[24:27], 0 offen offset:1024// 000000004378: E05C1400 80864426
	v_mfma_i32_16x16x32_i8 v[160:163], a[204:205], v[236:237], v[160:163]// 000000004380: D3D700A0 0E83D9CC
	v_mfma_i32_16x16x32_i8 v[160:163], a[206:207], v[238:239], v[160:163]// 000000004388: D3D700A0 0E83DDCE
	v_mfma_i32_16x16x32_i8 v[164:167], a[192:193], v[240:241], v[164:167]// 000000004390: D3D700A4 0E93E1C0
	v_mfma_i32_16x16x32_i8 v[164:167], a[194:195], v[242:243], v[164:167]// 000000004398: D3D700A4 0E93E5C2
	buffer_load_dwordx4 a[72:75], v38, s[24:27], 0 offen offset:2048// 0000000043A0: E05C1800 80864826
	v_mfma_i32_16x16x32_i8 v[164:167], a[196:197], v[244:245], v[164:167]// 0000000043A8: D3D700A4 0E93E9C4
	v_mfma_i32_16x16x32_i8 v[164:167], a[198:199], v[246:247], v[164:167]// 0000000043B0: D3D700A4 0E93EDC6
	v_mfma_i32_16x16x32_i8 v[164:167], a[200:201], v[248:249], v[164:167]// 0000000043B8: D3D700A4 0E93F1C8
	v_mfma_i32_16x16x32_i8 v[164:167], a[202:203], v[250:251], v[164:167]// 0000000043C0: D3D700A4 0E93F5CA
	buffer_load_dwordx4 a[76:79], v38, s[24:27], 0 offen offset:3072// 0000000043C8: E05C1C00 80864C26
	v_mfma_i32_16x16x32_i8 v[164:167], a[204:205], v[252:253], v[164:167]// 0000000043D0: D3D700A4 0E93F9CC
	v_mfma_i32_16x16x32_i8 v[164:167], a[206:207], v[254:255], v[164:167]// 0000000043D8: D3D700A4 0E93FDCE
	s_waitcnt vmcnt(36)                                        // 0000000043E0: BF8C8F74
	v_mfma_i32_16x16x32_i8 v[168:171], a[208:209], v[224:225], v[168:171]// 0000000043E4: D3D700A8 0EA3C1D0
	v_mfma_i32_16x16x32_i8 v[168:171], a[210:211], v[226:227], v[168:171]// 0000000043EC: D3D700A8 0EA3C5D2
	buffer_load_dwordx4 a[80:83], v39, s[24:27], 0 offen       // 0000000043F4: E05C1000 80865027
	v_mfma_i32_16x16x32_i8 v[168:171], a[212:213], v[228:229], v[168:171]// 0000000043FC: D3D700A8 0EA3C9D4
	v_mfma_i32_16x16x32_i8 v[168:171], a[214:215], v[230:231], v[168:171]// 000000004404: D3D700A8 0EA3CDD6
	v_mfma_i32_16x16x32_i8 v[168:171], a[216:217], v[232:233], v[168:171]// 00000000440C: D3D700A8 0EA3D1D8
	v_mfma_i32_16x16x32_i8 v[168:171], a[218:219], v[234:235], v[168:171]// 000000004414: D3D700A8 0EA3D5DA
	buffer_load_dwordx4 a[84:87], v39, s[24:27], 0 offen offset:1024// 00000000441C: E05C1400 80865427
	v_mfma_i32_16x16x32_i8 v[168:171], a[220:221], v[236:237], v[168:171]// 000000004424: D3D700A8 0EA3D9DC
	v_mfma_i32_16x16x32_i8 v[168:171], a[222:223], v[238:239], v[168:171]// 00000000442C: D3D700A8 0EA3DDDE
	v_mfma_i32_16x16x32_i8 v[172:175], a[208:209], v[240:241], v[172:175]// 000000004434: D3D700AC 0EB3E1D0
	v_mfma_i32_16x16x32_i8 v[172:175], a[210:211], v[242:243], v[172:175]// 00000000443C: D3D700AC 0EB3E5D2
	buffer_load_dwordx4 a[88:91], v39, s[24:27], 0 offen offset:2048// 000000004444: E05C1800 80865827
	v_mfma_i32_16x16x32_i8 v[172:175], a[212:213], v[244:245], v[172:175]// 00000000444C: D3D700AC 0EB3E9D4
	v_mfma_i32_16x16x32_i8 v[172:175], a[214:215], v[246:247], v[172:175]// 000000004454: D3D700AC 0EB3EDD6
	v_mfma_i32_16x16x32_i8 v[172:175], a[216:217], v[248:249], v[172:175]// 00000000445C: D3D700AC 0EB3F1D8
	v_mfma_i32_16x16x32_i8 v[172:175], a[218:219], v[250:251], v[172:175]// 000000004464: D3D700AC 0EB3F5DA
	buffer_load_dwordx4 a[92:95], v39, s[24:27], 0 offen offset:3072// 00000000446C: E05C1C00 80865C27
	v_mfma_i32_16x16x32_i8 v[172:175], a[220:221], v[252:253], v[172:175]// 000000004474: D3D700AC 0EB3F9DC
	v_mfma_i32_16x16x32_i8 v[172:175], a[222:223], v[254:255], v[172:175]// 00000000447C: D3D700AC 0EB3FDDE
	s_waitcnt vmcnt(36)                                        // 000000004484: BF8C8F74
	v_mfma_i32_16x16x32_i8 v[176:179], a[224:225], v[224:225], v[176:179]// 000000004488: D3D700B0 0EC3C1E0
	v_mfma_i32_16x16x32_i8 v[176:179], a[226:227], v[226:227], v[176:179]// 000000004490: D3D700B0 0EC3C5E2
	buffer_load_dwordx4 a[96:99], v40, s[24:27], 0 offen       // 000000004498: E05C1000 80866028
	v_mfma_i32_16x16x32_i8 v[176:179], a[228:229], v[228:229], v[176:179]// 0000000044A0: D3D700B0 0EC3C9E4
	v_mfma_i32_16x16x32_i8 v[176:179], a[230:231], v[230:231], v[176:179]// 0000000044A8: D3D700B0 0EC3CDE6
	v_mfma_i32_16x16x32_i8 v[176:179], a[232:233], v[232:233], v[176:179]// 0000000044B0: D3D700B0 0EC3D1E8
	v_mfma_i32_16x16x32_i8 v[176:179], a[234:235], v[234:235], v[176:179]// 0000000044B8: D3D700B0 0EC3D5EA
	buffer_load_dwordx4 a[100:103], v40, s[24:27], 0 offen offset:1024// 0000000044C0: E05C1400 80866428
	v_mfma_i32_16x16x32_i8 v[176:179], a[236:237], v[236:237], v[176:179]// 0000000044C8: D3D700B0 0EC3D9EC
	v_mfma_i32_16x16x32_i8 v[176:179], a[238:239], v[238:239], v[176:179]// 0000000044D0: D3D700B0 0EC3DDEE
	v_mfma_i32_16x16x32_i8 v[180:183], a[224:225], v[240:241], v[180:183]// 0000000044D8: D3D700B4 0ED3E1E0
	v_mfma_i32_16x16x32_i8 v[180:183], a[226:227], v[242:243], v[180:183]// 0000000044E0: D3D700B4 0ED3E5E2
	buffer_load_dwordx4 a[104:107], v40, s[24:27], 0 offen offset:2048// 0000000044E8: E05C1800 80866828
	v_mfma_i32_16x16x32_i8 v[180:183], a[228:229], v[244:245], v[180:183]// 0000000044F0: D3D700B4 0ED3E9E4
	v_mfma_i32_16x16x32_i8 v[180:183], a[230:231], v[246:247], v[180:183]// 0000000044F8: D3D700B4 0ED3EDE6
	v_mfma_i32_16x16x32_i8 v[180:183], a[232:233], v[248:249], v[180:183]// 000000004500: D3D700B4 0ED3F1E8
	v_mfma_i32_16x16x32_i8 v[180:183], a[234:235], v[250:251], v[180:183]// 000000004508: D3D700B4 0ED3F5EA
	buffer_load_dwordx4 a[108:111], v40, s[24:27], 0 offen offset:3072// 000000004510: E05C1C00 80866C28
	v_mfma_i32_16x16x32_i8 v[180:183], a[236:237], v[252:253], v[180:183]// 000000004518: D3D700B4 0ED3F9EC
	v_mfma_i32_16x16x32_i8 v[180:183], a[238:239], v[254:255], v[180:183]// 000000004520: D3D700B4 0ED3FDEE
	s_waitcnt vmcnt(36)                                        // 000000004528: BF8C8F74
	v_mfma_i32_16x16x32_i8 v[184:187], a[240:241], v[224:225], v[184:187]// 00000000452C: D3D700B8 0EE3C1F0
	v_mfma_i32_16x16x32_i8 v[184:187], a[242:243], v[226:227], v[184:187]// 000000004534: D3D700B8 0EE3C5F2
	buffer_load_dwordx4 a[112:115], v41, s[24:27], 0 offen     // 00000000453C: E05C1000 80867029
	v_mfma_i32_16x16x32_i8 v[184:187], a[244:245], v[228:229], v[184:187]// 000000004544: D3D700B8 0EE3C9F4
	v_mfma_i32_16x16x32_i8 v[184:187], a[246:247], v[230:231], v[184:187]// 00000000454C: D3D700B8 0EE3CDF6
	v_mfma_i32_16x16x32_i8 v[184:187], a[248:249], v[232:233], v[184:187]// 000000004554: D3D700B8 0EE3D1F8
	v_mfma_i32_16x16x32_i8 v[184:187], a[250:251], v[234:235], v[184:187]// 00000000455C: D3D700B8 0EE3D5FA
	buffer_load_dwordx4 a[116:119], v41, s[24:27], 0 offen offset:1024// 000000004564: E05C1400 80867429
	v_mfma_i32_16x16x32_i8 v[184:187], a[252:253], v[236:237], v[184:187]// 00000000456C: D3D700B8 0EE3D9FC
	v_mfma_i32_16x16x32_i8 v[184:187], a[254:255], v[238:239], v[184:187]// 000000004574: D3D700B8 0EE3DDFE
	v_mfma_i32_16x16x32_i8 v[188:191], a[240:241], v[240:241], v[188:191]// 00000000457C: D3D700BC 0EF3E1F0
	v_mfma_i32_16x16x32_i8 v[188:191], a[242:243], v[242:243], v[188:191]// 000000004584: D3D700BC 0EF3E5F2
	buffer_load_dwordx4 a[120:123], v41, s[24:27], 0 offen offset:2048// 00000000458C: E05C1800 80867829
	v_mfma_i32_16x16x32_i8 v[188:191], a[244:245], v[244:245], v[188:191]// 000000004594: D3D700BC 0EF3E9F4
	v_mfma_i32_16x16x32_i8 v[188:191], a[246:247], v[246:247], v[188:191]// 00000000459C: D3D700BC 0EF3EDF6
	v_mfma_i32_16x16x32_i8 v[188:191], a[248:249], v[248:249], v[188:191]// 0000000045A4: D3D700BC 0EF3F1F8
	v_mfma_i32_16x16x32_i8 v[188:191], a[250:251], v[250:251], v[188:191]// 0000000045AC: D3D700BC 0EF3F5FA
	buffer_load_dwordx4 a[124:127], v41, s[24:27], 0 offen offset:3072// 0000000045B4: E05C1C00 80867C29
	v_mfma_i32_16x16x32_i8 v[188:191], a[252:253], v[252:253], v[188:191]// 0000000045BC: D3D700BC 0EF3F9FC
	v_mfma_i32_16x16x32_i8 v[188:191], a[254:255], v[254:255], v[188:191]// 0000000045C4: D3D700BC 0EF3FDFE
	s_add_u32 s60, 0x300, s80                                  // 0000000045CC: 803C50FF 00000300
	s_cmp_lt_u32 s60, s81                                      // 0000000045D4: BF0A513C
	s_cselect_b32 s57, s57, 0                                  // 0000000045D8: 85398039
	s_add_u32 s60, 0x200, s80                                  // 0000000045DC: 803C50FF 00000200
	s_cmp_lt_u32 s60, s81                                      // 0000000045E4: BF0A513C
	s_cselect_b32 s58, s58, 0                                  // 0000000045E8: 853A803A
	s_add_u32 s20, s57, s20                                    // 0000000045EC: 80141439
	s_addc_u32 s21, 0, s21                                     // 0000000045F0: 82151580
	s_add_u32 s24, s58, s24                                    // 0000000045F4: 8018183A
	s_addc_u32 s25, 0, s25                                     // 0000000045F8: 82191980
	s_addk_i32 s80, 0x100                                      // 0000000045FC: B7500100
	s_cmp_lt_i32 s80, s81                                      // 000000004600: BF045150
	s_cbranch_scc0 label_0603                                  // 000000004604: BF840001
	s_branch label_02F6                                        // 000000004608: BF82FCF3

000000000000460c <label_0603>:
	s_mov_b32 s36, -1                                          // 00000000460C: BEA400C1
	s_mov_b32 s37, -1                                          // 000000004610: BEA500C1
	s_mov_b64 s[60:61], 0                                      // 000000004614: BEBC0180
	s_cmp_lt_u32 s82, s66                                      // 000000004618: BF0A4252
	s_cselect_b64 s[20:21], s[36:37], s[60:61]                 // 00000000461C: 85943C24
	s_cmp_lt_u32 s83, s66                                      // 000000004620: BF0A4253
	s_cselect_b64 s[22:23], s[36:37], s[60:61]                 // 000000004624: 85963C24
	s_cmp_lt_u32 s84, s66                                      // 000000004628: BF0A4254
	s_cselect_b64 s[24:25], s[36:37], s[60:61]                 // 00000000462C: 85983C24
	s_cmp_lt_u32 s85, s66                                      // 000000004630: BF0A4255
	s_cselect_b64 s[26:27], s[36:37], s[60:61]                 // 000000004634: 859A3C24
	s_cmp_lt_u32 s86, s66                                      // 000000004638: BF0A4256
	s_cselect_b64 s[28:29], s[36:37], s[60:61]                 // 00000000463C: 859C3C24
	s_cmp_lt_u32 s87, s66                                      // 000000004640: BF0A4257
	s_cselect_b64 s[30:31], s[36:37], s[60:61]                 // 000000004644: 859E3C24
	s_cmp_lt_u32 s88, s66                                      // 000000004648: BF0A4258
	s_cselect_b64 s[32:33], s[36:37], s[60:61]                 // 00000000464C: 85A03C24
	s_cmp_lt_u32 s89, s66                                      // 000000004650: BF0A4259
	s_cselect_b64 s[34:35], s[36:37], s[60:61]                 // 000000004654: 85A23C24
	v_cvt_f32_i32_e32 v128, v128                               // 000000004658: 7F000B80
	v_cvt_f32_i32_e32 v129, v129                               // 00000000465C: 7F020B81
	v_cvt_f32_i32_e32 v130, v130                               // 000000004660: 7F040B82
	v_cvt_f32_i32_e32 v131, v131                               // 000000004664: 7F060B83
	v_mul_f32_e32 v128, v14, v128                              // 000000004668: 0B01010E
	v_mul_f32_e32 v129, v14, v129                              // 00000000466C: 0B03030E
	v_mul_f32_e32 v130, v14, v130                              // 000000004670: 0B05050E
	v_mul_f32_e32 v131, v14, v131                              // 000000004674: 0B07070E
	v_mul_f32_dpp v128, v16, v128 row_newbcast:0 row_mask:0xf bank_mask:0xf// 000000004678: 0B0100FA FF015010
	v_mul_f32_dpp v129, v16, v129 row_newbcast:1 row_mask:0xf bank_mask:0xf// 000000004680: 0B0302FA FF015110
	v_mul_f32_dpp v130, v16, v130 row_newbcast:2 row_mask:0xf bank_mask:0xf// 000000004688: 0B0504FA FF015210
	v_mul_f32_dpp v131, v16, v131 row_newbcast:3 row_mask:0xf bank_mask:0xf// 000000004690: 0B0706FA FF015310
	v_cvt_f32_i32_e32 v132, v132                               // 000000004698: 7F080B84
	v_cvt_f32_i32_e32 v133, v133                               // 00000000469C: 7F0A0B85
	v_cvt_f32_i32_e32 v134, v134                               // 0000000046A0: 7F0C0B86
	v_cvt_f32_i32_e32 v135, v135                               // 0000000046A4: 7F0E0B87
	v_mul_f32_e32 v132, v15, v132                              // 0000000046A8: 0B09090F
	v_mul_f32_e32 v133, v15, v133                              // 0000000046AC: 0B0B0B0F
	v_mul_f32_e32 v134, v15, v134                              // 0000000046B0: 0B0D0D0F
	v_mul_f32_e32 v135, v15, v135                              // 0000000046B4: 0B0F0F0F
	v_mul_f32_dpp v132, v16, v132 row_newbcast:0 row_mask:0xf bank_mask:0xf// 0000000046B8: 0B0908FA FF015010
	v_mul_f32_dpp v133, v16, v133 row_newbcast:1 row_mask:0xf bank_mask:0xf// 0000000046C0: 0B0B0AFA FF015110
	v_mul_f32_dpp v134, v16, v134 row_newbcast:2 row_mask:0xf bank_mask:0xf// 0000000046C8: 0B0D0CFA FF015210
	v_mul_f32_dpp v135, v16, v135 row_newbcast:3 row_mask:0xf bank_mask:0xf// 0000000046D0: 0B0F0EFA FF015310
	v_cvt_f32_i32_e32 v136, v136                               // 0000000046D8: 7F100B88
	v_cvt_f32_i32_e32 v137, v137                               // 0000000046DC: 7F120B89
	v_cvt_f32_i32_e32 v138, v138                               // 0000000046E0: 7F140B8A
	v_cvt_f32_i32_e32 v139, v139                               // 0000000046E4: 7F160B8B
	v_mul_f32_e32 v136, v14, v136                              // 0000000046E8: 0B11110E
	v_mul_f32_e32 v137, v14, v137                              // 0000000046EC: 0B13130E
	v_mul_f32_e32 v138, v14, v138                              // 0000000046F0: 0B15150E
	v_mul_f32_e32 v139, v14, v139                              // 0000000046F4: 0B17170E
	v_mul_f32_dpp v136, v16, v136 row_newbcast:4 row_mask:0xf bank_mask:0xf// 0000000046F8: 0B1110FA FF015410
	v_mul_f32_dpp v137, v16, v137 row_newbcast:5 row_mask:0xf bank_mask:0xf// 000000004700: 0B1312FA FF015510
	v_mul_f32_dpp v138, v16, v138 row_newbcast:6 row_mask:0xf bank_mask:0xf// 000000004708: 0B1514FA FF015610
	v_mul_f32_dpp v139, v16, v139 row_newbcast:7 row_mask:0xf bank_mask:0xf// 000000004710: 0B1716FA FF015710
	v_cvt_f32_i32_e32 v140, v140                               // 000000004718: 7F180B8C
	v_cvt_f32_i32_e32 v141, v141                               // 00000000471C: 7F1A0B8D
	v_cvt_f32_i32_e32 v142, v142                               // 000000004720: 7F1C0B8E
	v_cvt_f32_i32_e32 v143, v143                               // 000000004724: 7F1E0B8F
	v_mul_f32_e32 v140, v15, v140                              // 000000004728: 0B19190F
	v_mul_f32_e32 v141, v15, v141                              // 00000000472C: 0B1B1B0F
	v_mul_f32_e32 v142, v15, v142                              // 000000004730: 0B1D1D0F
	v_mul_f32_e32 v143, v15, v143                              // 000000004734: 0B1F1F0F
	v_mul_f32_dpp v140, v16, v140 row_newbcast:4 row_mask:0xf bank_mask:0xf// 000000004738: 0B1918FA FF015410
	v_mul_f32_dpp v141, v16, v141 row_newbcast:5 row_mask:0xf bank_mask:0xf// 000000004740: 0B1B1AFA FF015510
	v_mul_f32_dpp v142, v16, v142 row_newbcast:6 row_mask:0xf bank_mask:0xf// 000000004748: 0B1D1CFA FF015610
	v_mul_f32_dpp v143, v16, v143 row_newbcast:7 row_mask:0xf bank_mask:0xf// 000000004750: 0B1F1EFA FF015710
	v_cvt_f32_i32_e32 v144, v144                               // 000000004758: 7F200B90
	v_cvt_f32_i32_e32 v145, v145                               // 00000000475C: 7F220B91
	v_cvt_f32_i32_e32 v146, v146                               // 000000004760: 7F240B92
	v_cvt_f32_i32_e32 v147, v147                               // 000000004764: 7F260B93
	v_mul_f32_e32 v144, v14, v144                              // 000000004768: 0B21210E
	v_mul_f32_e32 v145, v14, v145                              // 00000000476C: 0B23230E
	v_mul_f32_e32 v146, v14, v146                              // 000000004770: 0B25250E
	v_mul_f32_e32 v147, v14, v147                              // 000000004774: 0B27270E
	v_mul_f32_dpp v144, v16, v144 row_newbcast:8 row_mask:0xf bank_mask:0xf// 000000004778: 0B2120FA FF015810
	v_mul_f32_dpp v145, v16, v145 row_newbcast:9 row_mask:0xf bank_mask:0xf// 000000004780: 0B2322FA FF015910
	v_mul_f32_dpp v146, v16, v146 row_newbcast:10 row_mask:0xf bank_mask:0xf// 000000004788: 0B2524FA FF015A10
	v_mul_f32_dpp v147, v16, v147 row_newbcast:11 row_mask:0xf bank_mask:0xf// 000000004790: 0B2726FA FF015B10
	v_cvt_f32_i32_e32 v148, v148                               // 000000004798: 7F280B94
	v_cvt_f32_i32_e32 v149, v149                               // 00000000479C: 7F2A0B95
	v_cvt_f32_i32_e32 v150, v150                               // 0000000047A0: 7F2C0B96
	v_cvt_f32_i32_e32 v151, v151                               // 0000000047A4: 7F2E0B97
	v_mul_f32_e32 v148, v15, v148                              // 0000000047A8: 0B29290F
	v_mul_f32_e32 v149, v15, v149                              // 0000000047AC: 0B2B2B0F
	v_mul_f32_e32 v150, v15, v150                              // 0000000047B0: 0B2D2D0F
	v_mul_f32_e32 v151, v15, v151                              // 0000000047B4: 0B2F2F0F
	v_mul_f32_dpp v148, v16, v148 row_newbcast:8 row_mask:0xf bank_mask:0xf// 0000000047B8: 0B2928FA FF015810
	v_mul_f32_dpp v149, v16, v149 row_newbcast:9 row_mask:0xf bank_mask:0xf// 0000000047C0: 0B2B2AFA FF015910
	v_mul_f32_dpp v150, v16, v150 row_newbcast:10 row_mask:0xf bank_mask:0xf// 0000000047C8: 0B2D2CFA FF015A10
	v_mul_f32_dpp v151, v16, v151 row_newbcast:11 row_mask:0xf bank_mask:0xf// 0000000047D0: 0B2F2EFA FF015B10
	v_cvt_f32_i32_e32 v152, v152                               // 0000000047D8: 7F300B98
	v_cvt_f32_i32_e32 v153, v153                               // 0000000047DC: 7F320B99
	v_cvt_f32_i32_e32 v154, v154                               // 0000000047E0: 7F340B9A
	v_cvt_f32_i32_e32 v155, v155                               // 0000000047E4: 7F360B9B
	v_mul_f32_e32 v152, v14, v152                              // 0000000047E8: 0B31310E
	v_mul_f32_e32 v153, v14, v153                              // 0000000047EC: 0B33330E
	v_mul_f32_e32 v154, v14, v154                              // 0000000047F0: 0B35350E
	v_mul_f32_e32 v155, v14, v155                              // 0000000047F4: 0B37370E
	v_mul_f32_dpp v152, v16, v152 row_newbcast:12 row_mask:0xf bank_mask:0xf// 0000000047F8: 0B3130FA FF015C10
	v_mul_f32_dpp v153, v16, v153 row_newbcast:13 row_mask:0xf bank_mask:0xf// 000000004800: 0B3332FA FF015D10
	v_mul_f32_dpp v154, v16, v154 row_newbcast:14 row_mask:0xf bank_mask:0xf// 000000004808: 0B3534FA FF015E10
	v_mul_f32_dpp v155, v16, v155 row_newbcast:15 row_mask:0xf bank_mask:0xf// 000000004810: 0B3736FA FF015F10
	v_cvt_f32_i32_e32 v156, v156                               // 000000004818: 7F380B9C
	v_cvt_f32_i32_e32 v157, v157                               // 00000000481C: 7F3A0B9D
	v_cvt_f32_i32_e32 v158, v158                               // 000000004820: 7F3C0B9E
	v_cvt_f32_i32_e32 v159, v159                               // 000000004824: 7F3E0B9F
	v_mul_f32_e32 v156, v15, v156                              // 000000004828: 0B39390F
	v_mul_f32_e32 v157, v15, v157                              // 00000000482C: 0B3B3B0F
	v_mul_f32_e32 v158, v15, v158                              // 000000004830: 0B3D3D0F
	v_mul_f32_e32 v159, v15, v159                              // 000000004834: 0B3F3F0F
	v_mul_f32_dpp v156, v16, v156 row_newbcast:12 row_mask:0xf bank_mask:0xf// 000000004838: 0B3938FA FF015C10
	v_mul_f32_dpp v157, v16, v157 row_newbcast:13 row_mask:0xf bank_mask:0xf// 000000004840: 0B3B3AFA FF015D10
	v_mul_f32_dpp v158, v16, v158 row_newbcast:14 row_mask:0xf bank_mask:0xf// 000000004848: 0B3D3CFA FF015E10
	v_mul_f32_dpp v159, v16, v159 row_newbcast:15 row_mask:0xf bank_mask:0xf// 000000004850: 0B3F3EFA FF015F10
	v_cvt_f32_i32_e32 v160, v160                               // 000000004858: 7F400BA0
	v_cvt_f32_i32_e32 v161, v161                               // 00000000485C: 7F420BA1
	v_cvt_f32_i32_e32 v162, v162                               // 000000004860: 7F440BA2
	v_cvt_f32_i32_e32 v163, v163                               // 000000004864: 7F460BA3
	v_mul_f32_e32 v160, v14, v160                              // 000000004868: 0B41410E
	v_mul_f32_e32 v161, v14, v161                              // 00000000486C: 0B43430E
	v_mul_f32_e32 v162, v14, v162                              // 000000004870: 0B45450E
	v_mul_f32_e32 v163, v14, v163                              // 000000004874: 0B47470E
	v_mul_f32_dpp v160, v17, v160 row_newbcast:0 row_mask:0xf bank_mask:0xf// 000000004878: 0B4140FA FF015011
	v_mul_f32_dpp v161, v17, v161 row_newbcast:1 row_mask:0xf bank_mask:0xf// 000000004880: 0B4342FA FF015111
	v_mul_f32_dpp v162, v17, v162 row_newbcast:2 row_mask:0xf bank_mask:0xf// 000000004888: 0B4544FA FF015211
	v_mul_f32_dpp v163, v17, v163 row_newbcast:3 row_mask:0xf bank_mask:0xf// 000000004890: 0B4746FA FF015311
	v_cvt_f32_i32_e32 v164, v164                               // 000000004898: 7F480BA4
	v_cvt_f32_i32_e32 v165, v165                               // 00000000489C: 7F4A0BA5
	v_cvt_f32_i32_e32 v166, v166                               // 0000000048A0: 7F4C0BA6
	v_cvt_f32_i32_e32 v167, v167                               // 0000000048A4: 7F4E0BA7
	v_mul_f32_e32 v164, v15, v164                              // 0000000048A8: 0B49490F
	v_mul_f32_e32 v165, v15, v165                              // 0000000048AC: 0B4B4B0F
	v_mul_f32_e32 v166, v15, v166                              // 0000000048B0: 0B4D4D0F
	v_mul_f32_e32 v167, v15, v167                              // 0000000048B4: 0B4F4F0F
	v_mul_f32_dpp v164, v17, v164 row_newbcast:0 row_mask:0xf bank_mask:0xf// 0000000048B8: 0B4948FA FF015011
	v_mul_f32_dpp v165, v17, v165 row_newbcast:1 row_mask:0xf bank_mask:0xf// 0000000048C0: 0B4B4AFA FF015111
	v_mul_f32_dpp v166, v17, v166 row_newbcast:2 row_mask:0xf bank_mask:0xf// 0000000048C8: 0B4D4CFA FF015211
	v_mul_f32_dpp v167, v17, v167 row_newbcast:3 row_mask:0xf bank_mask:0xf// 0000000048D0: 0B4F4EFA FF015311
	v_cvt_f32_i32_e32 v168, v168                               // 0000000048D8: 7F500BA8
	v_cvt_f32_i32_e32 v169, v169                               // 0000000048DC: 7F520BA9
	v_cvt_f32_i32_e32 v170, v170                               // 0000000048E0: 7F540BAA
	v_cvt_f32_i32_e32 v171, v171                               // 0000000048E4: 7F560BAB
	v_mul_f32_e32 v168, v14, v168                              // 0000000048E8: 0B51510E
	v_mul_f32_e32 v169, v14, v169                              // 0000000048EC: 0B53530E
	v_mul_f32_e32 v170, v14, v170                              // 0000000048F0: 0B55550E
	v_mul_f32_e32 v171, v14, v171                              // 0000000048F4: 0B57570E
	v_mul_f32_dpp v168, v17, v168 row_newbcast:4 row_mask:0xf bank_mask:0xf// 0000000048F8: 0B5150FA FF015411
	v_mul_f32_dpp v169, v17, v169 row_newbcast:5 row_mask:0xf bank_mask:0xf// 000000004900: 0B5352FA FF015511
	v_mul_f32_dpp v170, v17, v170 row_newbcast:6 row_mask:0xf bank_mask:0xf// 000000004908: 0B5554FA FF015611
	v_mul_f32_dpp v171, v17, v171 row_newbcast:7 row_mask:0xf bank_mask:0xf// 000000004910: 0B5756FA FF015711
	v_cvt_f32_i32_e32 v172, v172                               // 000000004918: 7F580BAC
	v_cvt_f32_i32_e32 v173, v173                               // 00000000491C: 7F5A0BAD
	v_cvt_f32_i32_e32 v174, v174                               // 000000004920: 7F5C0BAE
	v_cvt_f32_i32_e32 v175, v175                               // 000000004924: 7F5E0BAF
	v_mul_f32_e32 v172, v15, v172                              // 000000004928: 0B59590F
	v_mul_f32_e32 v173, v15, v173                              // 00000000492C: 0B5B5B0F
	v_mul_f32_e32 v174, v15, v174                              // 000000004930: 0B5D5D0F
	v_mul_f32_e32 v175, v15, v175                              // 000000004934: 0B5F5F0F
	v_mul_f32_dpp v172, v17, v172 row_newbcast:4 row_mask:0xf bank_mask:0xf// 000000004938: 0B5958FA FF015411
	v_mul_f32_dpp v173, v17, v173 row_newbcast:5 row_mask:0xf bank_mask:0xf// 000000004940: 0B5B5AFA FF015511
	v_mul_f32_dpp v174, v17, v174 row_newbcast:6 row_mask:0xf bank_mask:0xf// 000000004948: 0B5D5CFA FF015611
	v_mul_f32_dpp v175, v17, v175 row_newbcast:7 row_mask:0xf bank_mask:0xf// 000000004950: 0B5F5EFA FF015711
	v_cvt_f32_i32_e32 v176, v176                               // 000000004958: 7F600BB0
	v_cvt_f32_i32_e32 v177, v177                               // 00000000495C: 7F620BB1
	v_cvt_f32_i32_e32 v178, v178                               // 000000004960: 7F640BB2
	v_cvt_f32_i32_e32 v179, v179                               // 000000004964: 7F660BB3
	v_mul_f32_e32 v176, v14, v176                              // 000000004968: 0B61610E
	v_mul_f32_e32 v177, v14, v177                              // 00000000496C: 0B63630E
	v_mul_f32_e32 v178, v14, v178                              // 000000004970: 0B65650E
	v_mul_f32_e32 v179, v14, v179                              // 000000004974: 0B67670E
	v_mul_f32_dpp v176, v17, v176 row_newbcast:8 row_mask:0xf bank_mask:0xf// 000000004978: 0B6160FA FF015811
	v_mul_f32_dpp v177, v17, v177 row_newbcast:9 row_mask:0xf bank_mask:0xf// 000000004980: 0B6362FA FF015911
	v_mul_f32_dpp v178, v17, v178 row_newbcast:10 row_mask:0xf bank_mask:0xf// 000000004988: 0B6564FA FF015A11
	v_mul_f32_dpp v179, v17, v179 row_newbcast:11 row_mask:0xf bank_mask:0xf// 000000004990: 0B6766FA FF015B11
	v_cvt_f32_i32_e32 v180, v180                               // 000000004998: 7F680BB4
	v_cvt_f32_i32_e32 v181, v181                               // 00000000499C: 7F6A0BB5
	v_cvt_f32_i32_e32 v182, v182                               // 0000000049A0: 7F6C0BB6
	v_cvt_f32_i32_e32 v183, v183                               // 0000000049A4: 7F6E0BB7
	v_mul_f32_e32 v180, v15, v180                              // 0000000049A8: 0B69690F
	v_mul_f32_e32 v181, v15, v181                              // 0000000049AC: 0B6B6B0F
	v_mul_f32_e32 v182, v15, v182                              // 0000000049B0: 0B6D6D0F
	v_mul_f32_e32 v183, v15, v183                              // 0000000049B4: 0B6F6F0F
	v_mul_f32_dpp v180, v17, v180 row_newbcast:8 row_mask:0xf bank_mask:0xf// 0000000049B8: 0B6968FA FF015811
	v_mul_f32_dpp v181, v17, v181 row_newbcast:9 row_mask:0xf bank_mask:0xf// 0000000049C0: 0B6B6AFA FF015911
	v_mul_f32_dpp v182, v17, v182 row_newbcast:10 row_mask:0xf bank_mask:0xf// 0000000049C8: 0B6D6CFA FF015A11
	v_mul_f32_dpp v183, v17, v183 row_newbcast:11 row_mask:0xf bank_mask:0xf// 0000000049D0: 0B6F6EFA FF015B11
	v_cvt_f32_i32_e32 v184, v184                               // 0000000049D8: 7F700BB8
	v_cvt_f32_i32_e32 v185, v185                               // 0000000049DC: 7F720BB9
	v_cvt_f32_i32_e32 v186, v186                               // 0000000049E0: 7F740BBA
	v_cvt_f32_i32_e32 v187, v187                               // 0000000049E4: 7F760BBB
	v_mul_f32_e32 v184, v14, v184                              // 0000000049E8: 0B71710E
	v_mul_f32_e32 v185, v14, v185                              // 0000000049EC: 0B73730E
	v_mul_f32_e32 v186, v14, v186                              // 0000000049F0: 0B75750E
	v_mul_f32_e32 v187, v14, v187                              // 0000000049F4: 0B77770E
	v_mul_f32_dpp v184, v17, v184 row_newbcast:12 row_mask:0xf bank_mask:0xf// 0000000049F8: 0B7170FA FF015C11
	v_mul_f32_dpp v185, v17, v185 row_newbcast:13 row_mask:0xf bank_mask:0xf// 000000004A00: 0B7372FA FF015D11
	v_mul_f32_dpp v186, v17, v186 row_newbcast:14 row_mask:0xf bank_mask:0xf// 000000004A08: 0B7574FA FF015E11
	v_mul_f32_dpp v187, v17, v187 row_newbcast:15 row_mask:0xf bank_mask:0xf// 000000004A10: 0B7776FA FF015F11
	v_cvt_f32_i32_e32 v188, v188                               // 000000004A18: 7F780BBC
	v_cvt_f32_i32_e32 v189, v189                               // 000000004A1C: 7F7A0BBD
	v_cvt_f32_i32_e32 v190, v190                               // 000000004A20: 7F7C0BBE
	v_cvt_f32_i32_e32 v191, v191                               // 000000004A24: 7F7E0BBF
	v_mul_f32_e32 v188, v15, v188                              // 000000004A28: 0B79790F
	v_mul_f32_e32 v189, v15, v189                              // 000000004A2C: 0B7B7B0F
	v_mul_f32_e32 v190, v15, v190                              // 000000004A30: 0B7D7D0F
	v_mul_f32_e32 v191, v15, v191                              // 000000004A34: 0B7F7F0F
	v_mul_f32_dpp v188, v17, v188 row_newbcast:12 row_mask:0xf bank_mask:0xf// 000000004A38: 0B7978FA FF015C11
	v_mul_f32_dpp v189, v17, v189 row_newbcast:13 row_mask:0xf bank_mask:0xf// 000000004A40: 0B7B7AFA FF015D11
	v_mul_f32_dpp v190, v17, v190 row_newbcast:14 row_mask:0xf bank_mask:0xf// 000000004A48: 0B7D7CFA FF015E11
	v_mul_f32_dpp v191, v17, v191 row_newbcast:15 row_mask:0xf bank_mask:0xf// 000000004A50: 0B7F7EFA FF015F11
	s_waitcnt vmcnt(28)                                        // 000000004A58: BF8C4F7C
	buffer_load_dwordx4 a[0:3], v42, s[12:15], 0 offen         // 000000004A5C: E05C1000 8083002A
	v_mul_f32_e32 v50, v128, v128                              // 000000004A64: 0A650180
	v_mul_f32_e32 v51, v129, v129                              // 000000004A68: 0A670381
	v_mul_f32_e32 v52, v130, v130                              // 000000004A6C: 0A690582
	v_mul_f32_e32 v53, v131, v131                              // 000000004A70: 0A6B0783
	v_fma_f32 v50, v50, s77, v1                                // 000000004A74: D1CB0032 04049B32
	v_fma_f32 v51, v51, s77, v1                                // 000000004A7C: D1CB0033 04049B33
	v_fma_f32 v52, v52, s77, v1                                // 000000004A84: D1CB0034 04049B34
	v_fma_f32 v53, v53, s77, v1                                // 000000004A8C: D1CB0035 04049B35
	v_mul_f32_e32 v50, v50, v128                               // 000000004A94: 0A650132
	v_mul_f32_e32 v51, v51, v129                               // 000000004A98: 0A670333
	v_mul_f32_e32 v52, v52, v130                               // 000000004A9C: 0A690534
	v_mul_f32_e32 v53, v53, v131                               // 000000004AA0: 0A6B0735
	v_mul_f32_e64 v50, v50, s6                                 // 000000004AA4: D1050032 00000D32
	v_mul_f32_e64 v51, v51, s6                                 // 000000004AAC: D1050033 00000D33
	v_mul_f32_e64 v52, v52, s6                                 // 000000004AB4: D1050034 00000D34
	v_mul_f32_e64 v53, v53, s6                                 // 000000004ABC: D1050035 00000D35
	v_exp_f32_e32 v50, v50                                     // 000000004AC4: 7E644132
	v_exp_f32_e32 v51, v51                                     // 000000004AC8: 7E664133
	v_exp_f32_e32 v52, v52                                     // 000000004ACC: 7E684134
	v_exp_f32_e32 v53, v53                                     // 000000004AD0: 7E6A4135
	buffer_load_dwordx4 a[4:7], v43, s[12:15], 0 offen         // 000000004AD4: E05C1000 8083042B
	v_add_f32_e64 v50, v50, 1.0                                // 000000004ADC: D1010032 0001E532
	v_add_f32_e64 v51, v51, 1.0                                // 000000004AE4: D1010033 0001E533
	v_add_f32_e64 v52, v52, 1.0                                // 000000004AEC: D1010034 0001E534
	v_add_f32_e64 v53, v53, 1.0                                // 000000004AF4: D1010035 0001E535
	v_rcp_f32_e32 v50, v50                                     // 000000004AFC: 7E644532
	v_rcp_f32_e32 v51, v51                                     // 000000004B00: 7E664533
	v_rcp_f32_e32 v52, v52                                     // 000000004B04: 7E684534
	v_rcp_f32_e32 v53, v53                                     // 000000004B08: 7E6A4535
	v_mul_f32_e32 v128, v128, v50                              // 000000004B0C: 0B006580
	v_mul_f32_e32 v129, v129, v51                              // 000000004B10: 0B026781
	v_mul_f32_e32 v130, v130, v52                              // 000000004B14: 0B046982
	v_mul_f32_e32 v131, v131, v53                              // 000000004B18: 0B066B83
	buffer_load_dwordx4 a[8:11], v44, s[12:15], 0 offen        // 000000004B1C: E05C1000 8083082C
	v_mul_f32_e32 v50, v132, v132                              // 000000004B24: 0A650984
	v_mul_f32_e32 v51, v133, v133                              // 000000004B28: 0A670B85
	v_mul_f32_e32 v52, v134, v134                              // 000000004B2C: 0A690D86
	v_mul_f32_e32 v53, v135, v135                              // 000000004B30: 0A6B0F87
	v_fma_f32 v50, v50, s77, v1                                // 000000004B34: D1CB0032 04049B32
	v_fma_f32 v51, v51, s77, v1                                // 000000004B3C: D1CB0033 04049B33
	v_fma_f32 v52, v52, s77, v1                                // 000000004B44: D1CB0034 04049B34
	v_fma_f32 v53, v53, s77, v1                                // 000000004B4C: D1CB0035 04049B35
	v_mul_f32_e32 v50, v50, v132                               // 000000004B54: 0A650932
	v_mul_f32_e32 v51, v51, v133                               // 000000004B58: 0A670B33
	v_mul_f32_e32 v52, v52, v134                               // 000000004B5C: 0A690D34
	v_mul_f32_e32 v53, v53, v135                               // 000000004B60: 0A6B0F35
	v_mul_f32_e64 v50, v50, s6                                 // 000000004B64: D1050032 00000D32
	v_mul_f32_e64 v51, v51, s6                                 // 000000004B6C: D1050033 00000D33
	v_mul_f32_e64 v52, v52, s6                                 // 000000004B74: D1050034 00000D34
	v_mul_f32_e64 v53, v53, s6                                 // 000000004B7C: D1050035 00000D35
	v_exp_f32_e32 v50, v50                                     // 000000004B84: 7E644132
	v_exp_f32_e32 v51, v51                                     // 000000004B88: 7E664133
	v_exp_f32_e32 v52, v52                                     // 000000004B8C: 7E684134
	v_exp_f32_e32 v53, v53                                     // 000000004B90: 7E6A4135
	buffer_load_dwordx4 a[12:15], v45, s[12:15], 0 offen       // 000000004B94: E05C1000 80830C2D
	s_add_u32 s12, s78, s12                                    // 000000004B9C: 800C0C4E
	s_addc_u32 s13, 0, s13                                     // 000000004BA0: 820D0D80
	v_add_f32_e64 v50, v50, 1.0                                // 000000004BA4: D1010032 0001E532
	v_add_f32_e64 v51, v51, 1.0                                // 000000004BAC: D1010033 0001E533
	v_add_f32_e64 v52, v52, 1.0                                // 000000004BB4: D1010034 0001E534
	v_add_f32_e64 v53, v53, 1.0                                // 000000004BBC: D1010035 0001E535
	v_rcp_f32_e32 v50, v50                                     // 000000004BC4: 7E644532
	v_rcp_f32_e32 v51, v51                                     // 000000004BC8: 7E664533
	v_rcp_f32_e32 v52, v52                                     // 000000004BCC: 7E684534
	v_rcp_f32_e32 v53, v53                                     // 000000004BD0: 7E6A4535
	v_mul_f32_e32 v132, v132, v50                              // 000000004BD4: 0B086584
	v_mul_f32_e32 v133, v133, v51                              // 000000004BD8: 0B0A6785
	v_mul_f32_e32 v134, v134, v52                              // 000000004BDC: 0B0C6986
	v_mul_f32_e32 v135, v135, v53                              // 000000004BE0: 0B0E6B87
	s_waitcnt vmcnt(28)                                        // 000000004BE4: BF8C4F7C
	buffer_load_dwordx4 a[16:19], v42, s[12:15], 0 offen       // 000000004BE8: E05C1000 8083102A
	v_mul_f32_e32 v50, v136, v136                              // 000000004BF0: 0A651188
	v_mul_f32_e32 v51, v137, v137                              // 000000004BF4: 0A671389
	v_mul_f32_e32 v52, v138, v138                              // 000000004BF8: 0A69158A
	v_mul_f32_e32 v53, v139, v139                              // 000000004BFC: 0A6B178B
	v_fma_f32 v50, v50, s77, v1                                // 000000004C00: D1CB0032 04049B32
	v_fma_f32 v51, v51, s77, v1                                // 000000004C08: D1CB0033 04049B33
	v_fma_f32 v52, v52, s77, v1                                // 000000004C10: D1CB0034 04049B34
	v_fma_f32 v53, v53, s77, v1                                // 000000004C18: D1CB0035 04049B35
	v_mul_f32_e32 v50, v50, v136                               // 000000004C20: 0A651132
	v_mul_f32_e32 v51, v51, v137                               // 000000004C24: 0A671333
	v_mul_f32_e32 v52, v52, v138                               // 000000004C28: 0A691534
	v_mul_f32_e32 v53, v53, v139                               // 000000004C2C: 0A6B1735
	v_mul_f32_e64 v50, v50, s6                                 // 000000004C30: D1050032 00000D32
	v_mul_f32_e64 v51, v51, s6                                 // 000000004C38: D1050033 00000D33
	v_mul_f32_e64 v52, v52, s6                                 // 000000004C40: D1050034 00000D34
	v_mul_f32_e64 v53, v53, s6                                 // 000000004C48: D1050035 00000D35
	v_exp_f32_e32 v50, v50                                     // 000000004C50: 7E644132
	v_exp_f32_e32 v51, v51                                     // 000000004C54: 7E664133
	v_exp_f32_e32 v52, v52                                     // 000000004C58: 7E684134
	v_exp_f32_e32 v53, v53                                     // 000000004C5C: 7E6A4135
	buffer_load_dwordx4 a[20:23], v43, s[12:15], 0 offen       // 000000004C60: E05C1000 8083142B
	v_add_f32_e64 v50, v50, 1.0                                // 000000004C68: D1010032 0001E532
	v_add_f32_e64 v51, v51, 1.0                                // 000000004C70: D1010033 0001E533
	v_add_f32_e64 v52, v52, 1.0                                // 000000004C78: D1010034 0001E534
	v_add_f32_e64 v53, v53, 1.0                                // 000000004C80: D1010035 0001E535
	v_rcp_f32_e32 v50, v50                                     // 000000004C88: 7E644532
	v_rcp_f32_e32 v51, v51                                     // 000000004C8C: 7E664533
	v_rcp_f32_e32 v52, v52                                     // 000000004C90: 7E684534
	v_rcp_f32_e32 v53, v53                                     // 000000004C94: 7E6A4535
	v_mul_f32_e32 v136, v136, v50                              // 000000004C98: 0B106588
	v_mul_f32_e32 v137, v137, v51                              // 000000004C9C: 0B126789
	v_mul_f32_e32 v138, v138, v52                              // 000000004CA0: 0B14698A
	v_mul_f32_e32 v139, v139, v53                              // 000000004CA4: 0B166B8B
	buffer_load_dwordx4 a[24:27], v44, s[12:15], 0 offen       // 000000004CA8: E05C1000 8083182C
	v_mul_f32_e32 v50, v140, v140                              // 000000004CB0: 0A65198C
	v_mul_f32_e32 v51, v141, v141                              // 000000004CB4: 0A671B8D
	v_mul_f32_e32 v52, v142, v142                              // 000000004CB8: 0A691D8E
	v_mul_f32_e32 v53, v143, v143                              // 000000004CBC: 0A6B1F8F
	v_fma_f32 v50, v50, s77, v1                                // 000000004CC0: D1CB0032 04049B32
	v_fma_f32 v51, v51, s77, v1                                // 000000004CC8: D1CB0033 04049B33
	v_fma_f32 v52, v52, s77, v1                                // 000000004CD0: D1CB0034 04049B34
	v_fma_f32 v53, v53, s77, v1                                // 000000004CD8: D1CB0035 04049B35
	v_mul_f32_e32 v50, v50, v140                               // 000000004CE0: 0A651932
	v_mul_f32_e32 v51, v51, v141                               // 000000004CE4: 0A671B33
	v_mul_f32_e32 v52, v52, v142                               // 000000004CE8: 0A691D34
	v_mul_f32_e32 v53, v53, v143                               // 000000004CEC: 0A6B1F35
	v_mul_f32_e64 v50, v50, s6                                 // 000000004CF0: D1050032 00000D32
	v_mul_f32_e64 v51, v51, s6                                 // 000000004CF8: D1050033 00000D33
	v_mul_f32_e64 v52, v52, s6                                 // 000000004D00: D1050034 00000D34
	v_mul_f32_e64 v53, v53, s6                                 // 000000004D08: D1050035 00000D35
	v_exp_f32_e32 v50, v50                                     // 000000004D10: 7E644132
	v_exp_f32_e32 v51, v51                                     // 000000004D14: 7E664133
	v_exp_f32_e32 v52, v52                                     // 000000004D18: 7E684134
	v_exp_f32_e32 v53, v53                                     // 000000004D1C: 7E6A4135
	buffer_load_dwordx4 a[28:31], v45, s[12:15], 0 offen       // 000000004D20: E05C1000 80831C2D
	s_add_u32 s12, s78, s12                                    // 000000004D28: 800C0C4E
	s_addc_u32 s13, 0, s13                                     // 000000004D2C: 820D0D80
	v_add_f32_e64 v50, v50, 1.0                                // 000000004D30: D1010032 0001E532
	v_add_f32_e64 v51, v51, 1.0                                // 000000004D38: D1010033 0001E533
	v_add_f32_e64 v52, v52, 1.0                                // 000000004D40: D1010034 0001E534
	v_add_f32_e64 v53, v53, 1.0                                // 000000004D48: D1010035 0001E535
	v_rcp_f32_e32 v50, v50                                     // 000000004D50: 7E644532
	v_rcp_f32_e32 v51, v51                                     // 000000004D54: 7E664533
	v_rcp_f32_e32 v52, v52                                     // 000000004D58: 7E684534
	v_rcp_f32_e32 v53, v53                                     // 000000004D5C: 7E6A4535
	v_mul_f32_e32 v140, v140, v50                              // 000000004D60: 0B18658C
	v_mul_f32_e32 v141, v141, v51                              // 000000004D64: 0B1A678D
	v_mul_f32_e32 v142, v142, v52                              // 000000004D68: 0B1C698E
	v_mul_f32_e32 v143, v143, v53                              // 000000004D6C: 0B1E6B8F
	s_waitcnt vmcnt(28)                                        // 000000004D70: BF8C4F7C
	buffer_load_dwordx4 a[32:35], v42, s[12:15], 0 offen       // 000000004D74: E05C1000 8083202A
	v_mul_f32_e32 v50, v144, v144                              // 000000004D7C: 0A652190
	v_mul_f32_e32 v51, v145, v145                              // 000000004D80: 0A672391
	v_mul_f32_e32 v52, v146, v146                              // 000000004D84: 0A692592
	v_mul_f32_e32 v53, v147, v147                              // 000000004D88: 0A6B2793
	v_fma_f32 v50, v50, s77, v1                                // 000000004D8C: D1CB0032 04049B32
	v_fma_f32 v51, v51, s77, v1                                // 000000004D94: D1CB0033 04049B33
	v_fma_f32 v52, v52, s77, v1                                // 000000004D9C: D1CB0034 04049B34
	v_fma_f32 v53, v53, s77, v1                                // 000000004DA4: D1CB0035 04049B35
	v_mul_f32_e32 v50, v50, v144                               // 000000004DAC: 0A652132
	v_mul_f32_e32 v51, v51, v145                               // 000000004DB0: 0A672333
	v_mul_f32_e32 v52, v52, v146                               // 000000004DB4: 0A692534
	v_mul_f32_e32 v53, v53, v147                               // 000000004DB8: 0A6B2735
	v_mul_f32_e64 v50, v50, s6                                 // 000000004DBC: D1050032 00000D32
	v_mul_f32_e64 v51, v51, s6                                 // 000000004DC4: D1050033 00000D33
	v_mul_f32_e64 v52, v52, s6                                 // 000000004DCC: D1050034 00000D34
	v_mul_f32_e64 v53, v53, s6                                 // 000000004DD4: D1050035 00000D35
	v_exp_f32_e32 v50, v50                                     // 000000004DDC: 7E644132
	v_exp_f32_e32 v51, v51                                     // 000000004DE0: 7E664133
	v_exp_f32_e32 v52, v52                                     // 000000004DE4: 7E684134
	v_exp_f32_e32 v53, v53                                     // 000000004DE8: 7E6A4135
	buffer_load_dwordx4 a[36:39], v43, s[12:15], 0 offen       // 000000004DEC: E05C1000 8083242B
	v_add_f32_e64 v50, v50, 1.0                                // 000000004DF4: D1010032 0001E532
	v_add_f32_e64 v51, v51, 1.0                                // 000000004DFC: D1010033 0001E533
	v_add_f32_e64 v52, v52, 1.0                                // 000000004E04: D1010034 0001E534
	v_add_f32_e64 v53, v53, 1.0                                // 000000004E0C: D1010035 0001E535
	v_rcp_f32_e32 v50, v50                                     // 000000004E14: 7E644532
	v_rcp_f32_e32 v51, v51                                     // 000000004E18: 7E664533
	v_rcp_f32_e32 v52, v52                                     // 000000004E1C: 7E684534
	v_rcp_f32_e32 v53, v53                                     // 000000004E20: 7E6A4535
	v_mul_f32_e32 v144, v144, v50                              // 000000004E24: 0B206590
	v_mul_f32_e32 v145, v145, v51                              // 000000004E28: 0B226791
	v_mul_f32_e32 v146, v146, v52                              // 000000004E2C: 0B246992
	v_mul_f32_e32 v147, v147, v53                              // 000000004E30: 0B266B93
	buffer_load_dwordx4 a[40:43], v44, s[12:15], 0 offen       // 000000004E34: E05C1000 8083282C
	v_mul_f32_e32 v50, v148, v148                              // 000000004E3C: 0A652994
	v_mul_f32_e32 v51, v149, v149                              // 000000004E40: 0A672B95
	v_mul_f32_e32 v52, v150, v150                              // 000000004E44: 0A692D96
	v_mul_f32_e32 v53, v151, v151                              // 000000004E48: 0A6B2F97
	v_fma_f32 v50, v50, s77, v1                                // 000000004E4C: D1CB0032 04049B32
	v_fma_f32 v51, v51, s77, v1                                // 000000004E54: D1CB0033 04049B33
	v_fma_f32 v52, v52, s77, v1                                // 000000004E5C: D1CB0034 04049B34
	v_fma_f32 v53, v53, s77, v1                                // 000000004E64: D1CB0035 04049B35
	v_mul_f32_e32 v50, v50, v148                               // 000000004E6C: 0A652932
	v_mul_f32_e32 v51, v51, v149                               // 000000004E70: 0A672B33
	v_mul_f32_e32 v52, v52, v150                               // 000000004E74: 0A692D34
	v_mul_f32_e32 v53, v53, v151                               // 000000004E78: 0A6B2F35
	v_mul_f32_e64 v50, v50, s6                                 // 000000004E7C: D1050032 00000D32
	v_mul_f32_e64 v51, v51, s6                                 // 000000004E84: D1050033 00000D33
	v_mul_f32_e64 v52, v52, s6                                 // 000000004E8C: D1050034 00000D34
	v_mul_f32_e64 v53, v53, s6                                 // 000000004E94: D1050035 00000D35
	v_exp_f32_e32 v50, v50                                     // 000000004E9C: 7E644132
	v_exp_f32_e32 v51, v51                                     // 000000004EA0: 7E664133
	v_exp_f32_e32 v52, v52                                     // 000000004EA4: 7E684134
	v_exp_f32_e32 v53, v53                                     // 000000004EA8: 7E6A4135
	buffer_load_dwordx4 a[44:47], v45, s[12:15], 0 offen       // 000000004EAC: E05C1000 80832C2D
	s_add_u32 s12, s78, s12                                    // 000000004EB4: 800C0C4E
	s_addc_u32 s13, 0, s13                                     // 000000004EB8: 820D0D80
	v_add_f32_e64 v50, v50, 1.0                                // 000000004EBC: D1010032 0001E532
	v_add_f32_e64 v51, v51, 1.0                                // 000000004EC4: D1010033 0001E533
	v_add_f32_e64 v52, v52, 1.0                                // 000000004ECC: D1010034 0001E534
	v_add_f32_e64 v53, v53, 1.0                                // 000000004ED4: D1010035 0001E535
	v_rcp_f32_e32 v50, v50                                     // 000000004EDC: 7E644532
	v_rcp_f32_e32 v51, v51                                     // 000000004EE0: 7E664533
	v_rcp_f32_e32 v52, v52                                     // 000000004EE4: 7E684534
	v_rcp_f32_e32 v53, v53                                     // 000000004EE8: 7E6A4535
	v_mul_f32_e32 v148, v148, v50                              // 000000004EEC: 0B286594
	v_mul_f32_e32 v149, v149, v51                              // 000000004EF0: 0B2A6795
	v_mul_f32_e32 v150, v150, v52                              // 000000004EF4: 0B2C6996
	v_mul_f32_e32 v151, v151, v53                              // 000000004EF8: 0B2E6B97
	s_waitcnt vmcnt(28)                                        // 000000004EFC: BF8C4F7C
	buffer_load_dwordx4 a[48:51], v42, s[12:15], 0 offen       // 000000004F00: E05C1000 8083302A
	v_mul_f32_e32 v50, v152, v152                              // 000000004F08: 0A653198
	v_mul_f32_e32 v51, v153, v153                              // 000000004F0C: 0A673399
	v_mul_f32_e32 v52, v154, v154                              // 000000004F10: 0A69359A
	v_mul_f32_e32 v53, v155, v155                              // 000000004F14: 0A6B379B
	v_fma_f32 v50, v50, s77, v1                                // 000000004F18: D1CB0032 04049B32
	v_fma_f32 v51, v51, s77, v1                                // 000000004F20: D1CB0033 04049B33
	v_fma_f32 v52, v52, s77, v1                                // 000000004F28: D1CB0034 04049B34
	v_fma_f32 v53, v53, s77, v1                                // 000000004F30: D1CB0035 04049B35
	v_mul_f32_e32 v50, v50, v152                               // 000000004F38: 0A653132
	v_mul_f32_e32 v51, v51, v153                               // 000000004F3C: 0A673333
	v_mul_f32_e32 v52, v52, v154                               // 000000004F40: 0A693534
	v_mul_f32_e32 v53, v53, v155                               // 000000004F44: 0A6B3735
	v_mul_f32_e64 v50, v50, s6                                 // 000000004F48: D1050032 00000D32
	v_mul_f32_e64 v51, v51, s6                                 // 000000004F50: D1050033 00000D33
	v_mul_f32_e64 v52, v52, s6                                 // 000000004F58: D1050034 00000D34
	v_mul_f32_e64 v53, v53, s6                                 // 000000004F60: D1050035 00000D35
	v_exp_f32_e32 v50, v50                                     // 000000004F68: 7E644132
	v_exp_f32_e32 v51, v51                                     // 000000004F6C: 7E664133
	v_exp_f32_e32 v52, v52                                     // 000000004F70: 7E684134
	v_exp_f32_e32 v53, v53                                     // 000000004F74: 7E6A4135
	buffer_load_dwordx4 a[52:55], v43, s[12:15], 0 offen       // 000000004F78: E05C1000 8083342B
	v_add_f32_e64 v50, v50, 1.0                                // 000000004F80: D1010032 0001E532
	v_add_f32_e64 v51, v51, 1.0                                // 000000004F88: D1010033 0001E533
	v_add_f32_e64 v52, v52, 1.0                                // 000000004F90: D1010034 0001E534
	v_add_f32_e64 v53, v53, 1.0                                // 000000004F98: D1010035 0001E535
	v_rcp_f32_e32 v50, v50                                     // 000000004FA0: 7E644532
	v_rcp_f32_e32 v51, v51                                     // 000000004FA4: 7E664533
	v_rcp_f32_e32 v52, v52                                     // 000000004FA8: 7E684534
	v_rcp_f32_e32 v53, v53                                     // 000000004FAC: 7E6A4535
	v_mul_f32_e32 v152, v152, v50                              // 000000004FB0: 0B306598
	v_mul_f32_e32 v153, v153, v51                              // 000000004FB4: 0B326799
	v_mul_f32_e32 v154, v154, v52                              // 000000004FB8: 0B34699A
	v_mul_f32_e32 v155, v155, v53                              // 000000004FBC: 0B366B9B
	buffer_load_dwordx4 a[56:59], v44, s[12:15], 0 offen       // 000000004FC0: E05C1000 8083382C
	v_mul_f32_e32 v50, v156, v156                              // 000000004FC8: 0A65399C
	v_mul_f32_e32 v51, v157, v157                              // 000000004FCC: 0A673B9D
	v_mul_f32_e32 v52, v158, v158                              // 000000004FD0: 0A693D9E
	v_mul_f32_e32 v53, v159, v159                              // 000000004FD4: 0A6B3F9F
	v_fma_f32 v50, v50, s77, v1                                // 000000004FD8: D1CB0032 04049B32
	v_fma_f32 v51, v51, s77, v1                                // 000000004FE0: D1CB0033 04049B33
	v_fma_f32 v52, v52, s77, v1                                // 000000004FE8: D1CB0034 04049B34
	v_fma_f32 v53, v53, s77, v1                                // 000000004FF0: D1CB0035 04049B35
	v_mul_f32_e32 v50, v50, v156                               // 000000004FF8: 0A653932
	v_mul_f32_e32 v51, v51, v157                               // 000000004FFC: 0A673B33
	v_mul_f32_e32 v52, v52, v158                               // 000000005000: 0A693D34
	v_mul_f32_e32 v53, v53, v159                               // 000000005004: 0A6B3F35
	v_mul_f32_e64 v50, v50, s6                                 // 000000005008: D1050032 00000D32
	v_mul_f32_e64 v51, v51, s6                                 // 000000005010: D1050033 00000D33
	v_mul_f32_e64 v52, v52, s6                                 // 000000005018: D1050034 00000D34
	v_mul_f32_e64 v53, v53, s6                                 // 000000005020: D1050035 00000D35
	v_exp_f32_e32 v50, v50                                     // 000000005028: 7E644132
	v_exp_f32_e32 v51, v51                                     // 00000000502C: 7E664133
	v_exp_f32_e32 v52, v52                                     // 000000005030: 7E684134
	v_exp_f32_e32 v53, v53                                     // 000000005034: 7E6A4135
	buffer_load_dwordx4 a[60:63], v45, s[12:15], 0 offen       // 000000005038: E05C1000 80833C2D
	s_add_u32 s12, s78, s12                                    // 000000005040: 800C0C4E
	s_addc_u32 s13, 0, s13                                     // 000000005044: 820D0D80
	v_add_f32_e64 v50, v50, 1.0                                // 000000005048: D1010032 0001E532
	v_add_f32_e64 v51, v51, 1.0                                // 000000005050: D1010033 0001E533
	v_add_f32_e64 v52, v52, 1.0                                // 000000005058: D1010034 0001E534
	v_add_f32_e64 v53, v53, 1.0                                // 000000005060: D1010035 0001E535
	v_rcp_f32_e32 v50, v50                                     // 000000005068: 7E644532
	v_rcp_f32_e32 v51, v51                                     // 00000000506C: 7E664533
	v_rcp_f32_e32 v52, v52                                     // 000000005070: 7E684534
	v_rcp_f32_e32 v53, v53                                     // 000000005074: 7E6A4535
	v_mul_f32_e32 v156, v156, v50                              // 000000005078: 0B38659C
	v_mul_f32_e32 v157, v157, v51                              // 00000000507C: 0B3A679D
	v_mul_f32_e32 v158, v158, v52                              // 000000005080: 0B3C699E
	v_mul_f32_e32 v159, v159, v53                              // 000000005084: 0B3E6B9F
	s_waitcnt vmcnt(28)                                        // 000000005088: BF8C4F7C
	buffer_load_dwordx4 a[64:67], v42, s[12:15], 0 offen       // 00000000508C: E05C1000 8083402A
	v_mul_f32_e32 v50, v160, v160                              // 000000005094: 0A6541A0
	v_mul_f32_e32 v51, v161, v161                              // 000000005098: 0A6743A1
	v_mul_f32_e32 v52, v162, v162                              // 00000000509C: 0A6945A2
	v_mul_f32_e32 v53, v163, v163                              // 0000000050A0: 0A6B47A3
	v_fma_f32 v50, v50, s77, v1                                // 0000000050A4: D1CB0032 04049B32
	v_fma_f32 v51, v51, s77, v1                                // 0000000050AC: D1CB0033 04049B33
	v_fma_f32 v52, v52, s77, v1                                // 0000000050B4: D1CB0034 04049B34
	v_fma_f32 v53, v53, s77, v1                                // 0000000050BC: D1CB0035 04049B35
	v_mul_f32_e32 v50, v50, v160                               // 0000000050C4: 0A654132
	v_mul_f32_e32 v51, v51, v161                               // 0000000050C8: 0A674333
	v_mul_f32_e32 v52, v52, v162                               // 0000000050CC: 0A694534
	v_mul_f32_e32 v53, v53, v163                               // 0000000050D0: 0A6B4735
	v_mul_f32_e64 v50, v50, s6                                 // 0000000050D4: D1050032 00000D32
	v_mul_f32_e64 v51, v51, s6                                 // 0000000050DC: D1050033 00000D33
	v_mul_f32_e64 v52, v52, s6                                 // 0000000050E4: D1050034 00000D34
	v_mul_f32_e64 v53, v53, s6                                 // 0000000050EC: D1050035 00000D35
	v_exp_f32_e32 v50, v50                                     // 0000000050F4: 7E644132
	v_exp_f32_e32 v51, v51                                     // 0000000050F8: 7E664133
	v_exp_f32_e32 v52, v52                                     // 0000000050FC: 7E684134
	v_exp_f32_e32 v53, v53                                     // 000000005100: 7E6A4135
	buffer_load_dwordx4 a[68:71], v43, s[12:15], 0 offen       // 000000005104: E05C1000 8083442B
	v_add_f32_e64 v50, v50, 1.0                                // 00000000510C: D1010032 0001E532
	v_add_f32_e64 v51, v51, 1.0                                // 000000005114: D1010033 0001E533
	v_add_f32_e64 v52, v52, 1.0                                // 00000000511C: D1010034 0001E534
	v_add_f32_e64 v53, v53, 1.0                                // 000000005124: D1010035 0001E535
	v_rcp_f32_e32 v50, v50                                     // 00000000512C: 7E644532
	v_rcp_f32_e32 v51, v51                                     // 000000005130: 7E664533
	v_rcp_f32_e32 v52, v52                                     // 000000005134: 7E684534
	v_rcp_f32_e32 v53, v53                                     // 000000005138: 7E6A4535
	v_mul_f32_e32 v160, v160, v50                              // 00000000513C: 0B4065A0
	v_mul_f32_e32 v161, v161, v51                              // 000000005140: 0B4267A1
	v_mul_f32_e32 v162, v162, v52                              // 000000005144: 0B4469A2
	v_mul_f32_e32 v163, v163, v53                              // 000000005148: 0B466BA3
	buffer_load_dwordx4 a[72:75], v44, s[12:15], 0 offen       // 00000000514C: E05C1000 8083482C
	v_mul_f32_e32 v50, v164, v164                              // 000000005154: 0A6549A4
	v_mul_f32_e32 v51, v165, v165                              // 000000005158: 0A674BA5
	v_mul_f32_e32 v52, v166, v166                              // 00000000515C: 0A694DA6
	v_mul_f32_e32 v53, v167, v167                              // 000000005160: 0A6B4FA7
	v_fma_f32 v50, v50, s77, v1                                // 000000005164: D1CB0032 04049B32
	v_fma_f32 v51, v51, s77, v1                                // 00000000516C: D1CB0033 04049B33
	v_fma_f32 v52, v52, s77, v1                                // 000000005174: D1CB0034 04049B34
	v_fma_f32 v53, v53, s77, v1                                // 00000000517C: D1CB0035 04049B35
	v_mul_f32_e32 v50, v50, v164                               // 000000005184: 0A654932
	v_mul_f32_e32 v51, v51, v165                               // 000000005188: 0A674B33
	v_mul_f32_e32 v52, v52, v166                               // 00000000518C: 0A694D34
	v_mul_f32_e32 v53, v53, v167                               // 000000005190: 0A6B4F35
	v_mul_f32_e64 v50, v50, s6                                 // 000000005194: D1050032 00000D32
	v_mul_f32_e64 v51, v51, s6                                 // 00000000519C: D1050033 00000D33
	v_mul_f32_e64 v52, v52, s6                                 // 0000000051A4: D1050034 00000D34
	v_mul_f32_e64 v53, v53, s6                                 // 0000000051AC: D1050035 00000D35
	v_exp_f32_e32 v50, v50                                     // 0000000051B4: 7E644132
	v_exp_f32_e32 v51, v51                                     // 0000000051B8: 7E664133
	v_exp_f32_e32 v52, v52                                     // 0000000051BC: 7E684134
	v_exp_f32_e32 v53, v53                                     // 0000000051C0: 7E6A4135
	buffer_load_dwordx4 a[76:79], v45, s[12:15], 0 offen       // 0000000051C4: E05C1000 80834C2D
	s_add_u32 s12, s78, s12                                    // 0000000051CC: 800C0C4E
	s_addc_u32 s13, 0, s13                                     // 0000000051D0: 820D0D80
	v_add_f32_e64 v50, v50, 1.0                                // 0000000051D4: D1010032 0001E532
	v_add_f32_e64 v51, v51, 1.0                                // 0000000051DC: D1010033 0001E533
	v_add_f32_e64 v52, v52, 1.0                                // 0000000051E4: D1010034 0001E534
	v_add_f32_e64 v53, v53, 1.0                                // 0000000051EC: D1010035 0001E535
	v_rcp_f32_e32 v50, v50                                     // 0000000051F4: 7E644532
	v_rcp_f32_e32 v51, v51                                     // 0000000051F8: 7E664533
	v_rcp_f32_e32 v52, v52                                     // 0000000051FC: 7E684534
	v_rcp_f32_e32 v53, v53                                     // 000000005200: 7E6A4535
	v_mul_f32_e32 v164, v164, v50                              // 000000005204: 0B4865A4
	v_mul_f32_e32 v165, v165, v51                              // 000000005208: 0B4A67A5
	v_mul_f32_e32 v166, v166, v52                              // 00000000520C: 0B4C69A6
	v_mul_f32_e32 v167, v167, v53                              // 000000005210: 0B4E6BA7
	s_waitcnt vmcnt(28)                                        // 000000005214: BF8C4F7C
	buffer_load_dwordx4 a[80:83], v42, s[12:15], 0 offen       // 000000005218: E05C1000 8083502A
	v_mul_f32_e32 v50, v168, v168                              // 000000005220: 0A6551A8
	v_mul_f32_e32 v51, v169, v169                              // 000000005224: 0A6753A9
	v_mul_f32_e32 v52, v170, v170                              // 000000005228: 0A6955AA
	v_mul_f32_e32 v53, v171, v171                              // 00000000522C: 0A6B57AB
	v_fma_f32 v50, v50, s77, v1                                // 000000005230: D1CB0032 04049B32
	v_fma_f32 v51, v51, s77, v1                                // 000000005238: D1CB0033 04049B33
	v_fma_f32 v52, v52, s77, v1                                // 000000005240: D1CB0034 04049B34
	v_fma_f32 v53, v53, s77, v1                                // 000000005248: D1CB0035 04049B35
	v_mul_f32_e32 v50, v50, v168                               // 000000005250: 0A655132
	v_mul_f32_e32 v51, v51, v169                               // 000000005254: 0A675333
	v_mul_f32_e32 v52, v52, v170                               // 000000005258: 0A695534
	v_mul_f32_e32 v53, v53, v171                               // 00000000525C: 0A6B5735
	v_mul_f32_e64 v50, v50, s6                                 // 000000005260: D1050032 00000D32
	v_mul_f32_e64 v51, v51, s6                                 // 000000005268: D1050033 00000D33
	v_mul_f32_e64 v52, v52, s6                                 // 000000005270: D1050034 00000D34
	v_mul_f32_e64 v53, v53, s6                                 // 000000005278: D1050035 00000D35
	v_exp_f32_e32 v50, v50                                     // 000000005280: 7E644132
	v_exp_f32_e32 v51, v51                                     // 000000005284: 7E664133
	v_exp_f32_e32 v52, v52                                     // 000000005288: 7E684134
	v_exp_f32_e32 v53, v53                                     // 00000000528C: 7E6A4135
	buffer_load_dwordx4 a[84:87], v43, s[12:15], 0 offen       // 000000005290: E05C1000 8083542B
	v_add_f32_e64 v50, v50, 1.0                                // 000000005298: D1010032 0001E532
	v_add_f32_e64 v51, v51, 1.0                                // 0000000052A0: D1010033 0001E533
	v_add_f32_e64 v52, v52, 1.0                                // 0000000052A8: D1010034 0001E534
	v_add_f32_e64 v53, v53, 1.0                                // 0000000052B0: D1010035 0001E535
	v_rcp_f32_e32 v50, v50                                     // 0000000052B8: 7E644532
	v_rcp_f32_e32 v51, v51                                     // 0000000052BC: 7E664533
	v_rcp_f32_e32 v52, v52                                     // 0000000052C0: 7E684534
	v_rcp_f32_e32 v53, v53                                     // 0000000052C4: 7E6A4535
	v_mul_f32_e32 v168, v168, v50                              // 0000000052C8: 0B5065A8
	v_mul_f32_e32 v169, v169, v51                              // 0000000052CC: 0B5267A9
	v_mul_f32_e32 v170, v170, v52                              // 0000000052D0: 0B5469AA
	v_mul_f32_e32 v171, v171, v53                              // 0000000052D4: 0B566BAB
	buffer_load_dwordx4 a[88:91], v44, s[12:15], 0 offen       // 0000000052D8: E05C1000 8083582C
	v_mul_f32_e32 v50, v172, v172                              // 0000000052E0: 0A6559AC
	v_mul_f32_e32 v51, v173, v173                              // 0000000052E4: 0A675BAD
	v_mul_f32_e32 v52, v174, v174                              // 0000000052E8: 0A695DAE
	v_mul_f32_e32 v53, v175, v175                              // 0000000052EC: 0A6B5FAF
	v_fma_f32 v50, v50, s77, v1                                // 0000000052F0: D1CB0032 04049B32
	v_fma_f32 v51, v51, s77, v1                                // 0000000052F8: D1CB0033 04049B33
	v_fma_f32 v52, v52, s77, v1                                // 000000005300: D1CB0034 04049B34
	v_fma_f32 v53, v53, s77, v1                                // 000000005308: D1CB0035 04049B35
	v_mul_f32_e32 v50, v50, v172                               // 000000005310: 0A655932
	v_mul_f32_e32 v51, v51, v173                               // 000000005314: 0A675B33
	v_mul_f32_e32 v52, v52, v174                               // 000000005318: 0A695D34
	v_mul_f32_e32 v53, v53, v175                               // 00000000531C: 0A6B5F35
	v_mul_f32_e64 v50, v50, s6                                 // 000000005320: D1050032 00000D32
	v_mul_f32_e64 v51, v51, s6                                 // 000000005328: D1050033 00000D33
	v_mul_f32_e64 v52, v52, s6                                 // 000000005330: D1050034 00000D34
	v_mul_f32_e64 v53, v53, s6                                 // 000000005338: D1050035 00000D35
	v_exp_f32_e32 v50, v50                                     // 000000005340: 7E644132
	v_exp_f32_e32 v51, v51                                     // 000000005344: 7E664133
	v_exp_f32_e32 v52, v52                                     // 000000005348: 7E684134
	v_exp_f32_e32 v53, v53                                     // 00000000534C: 7E6A4135
	buffer_load_dwordx4 a[92:95], v45, s[12:15], 0 offen       // 000000005350: E05C1000 80835C2D
	s_add_u32 s12, s78, s12                                    // 000000005358: 800C0C4E
	s_addc_u32 s13, 0, s13                                     // 00000000535C: 820D0D80
	v_add_f32_e64 v50, v50, 1.0                                // 000000005360: D1010032 0001E532
	v_add_f32_e64 v51, v51, 1.0                                // 000000005368: D1010033 0001E533
	v_add_f32_e64 v52, v52, 1.0                                // 000000005370: D1010034 0001E534
	v_add_f32_e64 v53, v53, 1.0                                // 000000005378: D1010035 0001E535
	v_rcp_f32_e32 v50, v50                                     // 000000005380: 7E644532
	v_rcp_f32_e32 v51, v51                                     // 000000005384: 7E664533
	v_rcp_f32_e32 v52, v52                                     // 000000005388: 7E684534
	v_rcp_f32_e32 v53, v53                                     // 00000000538C: 7E6A4535
	v_mul_f32_e32 v172, v172, v50                              // 000000005390: 0B5865AC
	v_mul_f32_e32 v173, v173, v51                              // 000000005394: 0B5A67AD
	v_mul_f32_e32 v174, v174, v52                              // 000000005398: 0B5C69AE
	v_mul_f32_e32 v175, v175, v53                              // 00000000539C: 0B5E6BAF
	s_waitcnt vmcnt(28)                                        // 0000000053A0: BF8C4F7C
	buffer_load_dwordx4 a[96:99], v42, s[12:15], 0 offen       // 0000000053A4: E05C1000 8083602A
	v_mul_f32_e32 v50, v176, v176                              // 0000000053AC: 0A6561B0
	v_mul_f32_e32 v51, v177, v177                              // 0000000053B0: 0A6763B1
	v_mul_f32_e32 v52, v178, v178                              // 0000000053B4: 0A6965B2
	v_mul_f32_e32 v53, v179, v179                              // 0000000053B8: 0A6B67B3
	v_fma_f32 v50, v50, s77, v1                                // 0000000053BC: D1CB0032 04049B32
	v_fma_f32 v51, v51, s77, v1                                // 0000000053C4: D1CB0033 04049B33
	v_fma_f32 v52, v52, s77, v1                                // 0000000053CC: D1CB0034 04049B34
	v_fma_f32 v53, v53, s77, v1                                // 0000000053D4: D1CB0035 04049B35
	v_mul_f32_e32 v50, v50, v176                               // 0000000053DC: 0A656132
	v_mul_f32_e32 v51, v51, v177                               // 0000000053E0: 0A676333
	v_mul_f32_e32 v52, v52, v178                               // 0000000053E4: 0A696534
	v_mul_f32_e32 v53, v53, v179                               // 0000000053E8: 0A6B6735
	v_mul_f32_e64 v50, v50, s6                                 // 0000000053EC: D1050032 00000D32
	v_mul_f32_e64 v51, v51, s6                                 // 0000000053F4: D1050033 00000D33
	v_mul_f32_e64 v52, v52, s6                                 // 0000000053FC: D1050034 00000D34
	v_mul_f32_e64 v53, v53, s6                                 // 000000005404: D1050035 00000D35
	v_exp_f32_e32 v50, v50                                     // 00000000540C: 7E644132
	v_exp_f32_e32 v51, v51                                     // 000000005410: 7E664133
	v_exp_f32_e32 v52, v52                                     // 000000005414: 7E684134
	v_exp_f32_e32 v53, v53                                     // 000000005418: 7E6A4135
	buffer_load_dwordx4 a[100:103], v43, s[12:15], 0 offen     // 00000000541C: E05C1000 8083642B
	v_add_f32_e64 v50, v50, 1.0                                // 000000005424: D1010032 0001E532
	v_add_f32_e64 v51, v51, 1.0                                // 00000000542C: D1010033 0001E533
	v_add_f32_e64 v52, v52, 1.0                                // 000000005434: D1010034 0001E534
	v_add_f32_e64 v53, v53, 1.0                                // 00000000543C: D1010035 0001E535
	v_rcp_f32_e32 v50, v50                                     // 000000005444: 7E644532
	v_rcp_f32_e32 v51, v51                                     // 000000005448: 7E664533
	v_rcp_f32_e32 v52, v52                                     // 00000000544C: 7E684534
	v_rcp_f32_e32 v53, v53                                     // 000000005450: 7E6A4535
	v_mul_f32_e32 v176, v176, v50                              // 000000005454: 0B6065B0
	v_mul_f32_e32 v177, v177, v51                              // 000000005458: 0B6267B1
	v_mul_f32_e32 v178, v178, v52                              // 00000000545C: 0B6469B2
	v_mul_f32_e32 v179, v179, v53                              // 000000005460: 0B666BB3
	buffer_load_dwordx4 a[104:107], v44, s[12:15], 0 offen     // 000000005464: E05C1000 8083682C
	v_mul_f32_e32 v50, v180, v180                              // 00000000546C: 0A6569B4
	v_mul_f32_e32 v51, v181, v181                              // 000000005470: 0A676BB5
	v_mul_f32_e32 v52, v182, v182                              // 000000005474: 0A696DB6
	v_mul_f32_e32 v53, v183, v183                              // 000000005478: 0A6B6FB7
	v_fma_f32 v50, v50, s77, v1                                // 00000000547C: D1CB0032 04049B32
	v_fma_f32 v51, v51, s77, v1                                // 000000005484: D1CB0033 04049B33
	v_fma_f32 v52, v52, s77, v1                                // 00000000548C: D1CB0034 04049B34
	v_fma_f32 v53, v53, s77, v1                                // 000000005494: D1CB0035 04049B35
	v_mul_f32_e32 v50, v50, v180                               // 00000000549C: 0A656932
	v_mul_f32_e32 v51, v51, v181                               // 0000000054A0: 0A676B33
	v_mul_f32_e32 v52, v52, v182                               // 0000000054A4: 0A696D34
	v_mul_f32_e32 v53, v53, v183                               // 0000000054A8: 0A6B6F35
	v_mul_f32_e64 v50, v50, s6                                 // 0000000054AC: D1050032 00000D32
	v_mul_f32_e64 v51, v51, s6                                 // 0000000054B4: D1050033 00000D33
	v_mul_f32_e64 v52, v52, s6                                 // 0000000054BC: D1050034 00000D34
	v_mul_f32_e64 v53, v53, s6                                 // 0000000054C4: D1050035 00000D35
	v_exp_f32_e32 v50, v50                                     // 0000000054CC: 7E644132
	v_exp_f32_e32 v51, v51                                     // 0000000054D0: 7E664133
	v_exp_f32_e32 v52, v52                                     // 0000000054D4: 7E684134
	v_exp_f32_e32 v53, v53                                     // 0000000054D8: 7E6A4135
	buffer_load_dwordx4 a[108:111], v45, s[12:15], 0 offen     // 0000000054DC: E05C1000 80836C2D
	s_add_u32 s12, s78, s12                                    // 0000000054E4: 800C0C4E
	s_addc_u32 s13, 0, s13                                     // 0000000054E8: 820D0D80
	v_add_f32_e64 v50, v50, 1.0                                // 0000000054EC: D1010032 0001E532
	v_add_f32_e64 v51, v51, 1.0                                // 0000000054F4: D1010033 0001E533
	v_add_f32_e64 v52, v52, 1.0                                // 0000000054FC: D1010034 0001E534
	v_add_f32_e64 v53, v53, 1.0                                // 000000005504: D1010035 0001E535
	v_rcp_f32_e32 v50, v50                                     // 00000000550C: 7E644532
	v_rcp_f32_e32 v51, v51                                     // 000000005510: 7E664533
	v_rcp_f32_e32 v52, v52                                     // 000000005514: 7E684534
	v_rcp_f32_e32 v53, v53                                     // 000000005518: 7E6A4535
	v_mul_f32_e32 v180, v180, v50                              // 00000000551C: 0B6865B4
	v_mul_f32_e32 v181, v181, v51                              // 000000005520: 0B6A67B5
	v_mul_f32_e32 v182, v182, v52                              // 000000005524: 0B6C69B6
	v_mul_f32_e32 v183, v183, v53                              // 000000005528: 0B6E6BB7
	s_waitcnt vmcnt(28)                                        // 00000000552C: BF8C4F7C
	buffer_load_dwordx4 a[112:115], v42, s[12:15], 0 offen     // 000000005530: E05C1000 8083702A
	v_mul_f32_e32 v50, v184, v184                              // 000000005538: 0A6571B8
	v_mul_f32_e32 v51, v185, v185                              // 00000000553C: 0A6773B9
	v_mul_f32_e32 v52, v186, v186                              // 000000005540: 0A6975BA
	v_mul_f32_e32 v53, v187, v187                              // 000000005544: 0A6B77BB
	v_fma_f32 v50, v50, s77, v1                                // 000000005548: D1CB0032 04049B32
	v_fma_f32 v51, v51, s77, v1                                // 000000005550: D1CB0033 04049B33
	v_fma_f32 v52, v52, s77, v1                                // 000000005558: D1CB0034 04049B34
	v_fma_f32 v53, v53, s77, v1                                // 000000005560: D1CB0035 04049B35
	v_mul_f32_e32 v50, v50, v184                               // 000000005568: 0A657132
	v_mul_f32_e32 v51, v51, v185                               // 00000000556C: 0A677333
	v_mul_f32_e32 v52, v52, v186                               // 000000005570: 0A697534
	v_mul_f32_e32 v53, v53, v187                               // 000000005574: 0A6B7735
	v_mul_f32_e64 v50, v50, s6                                 // 000000005578: D1050032 00000D32
	v_mul_f32_e64 v51, v51, s6                                 // 000000005580: D1050033 00000D33
	v_mul_f32_e64 v52, v52, s6                                 // 000000005588: D1050034 00000D34
	v_mul_f32_e64 v53, v53, s6                                 // 000000005590: D1050035 00000D35
	v_exp_f32_e32 v50, v50                                     // 000000005598: 7E644132
	v_exp_f32_e32 v51, v51                                     // 00000000559C: 7E664133
	v_exp_f32_e32 v52, v52                                     // 0000000055A0: 7E684134
	v_exp_f32_e32 v53, v53                                     // 0000000055A4: 7E6A4135
	buffer_load_dwordx4 a[116:119], v43, s[12:15], 0 offen     // 0000000055A8: E05C1000 8083742B
	v_add_f32_e64 v50, v50, 1.0                                // 0000000055B0: D1010032 0001E532
	v_add_f32_e64 v51, v51, 1.0                                // 0000000055B8: D1010033 0001E533
	v_add_f32_e64 v52, v52, 1.0                                // 0000000055C0: D1010034 0001E534
	v_add_f32_e64 v53, v53, 1.0                                // 0000000055C8: D1010035 0001E535
	v_rcp_f32_e32 v50, v50                                     // 0000000055D0: 7E644532
	v_rcp_f32_e32 v51, v51                                     // 0000000055D4: 7E664533
	v_rcp_f32_e32 v52, v52                                     // 0000000055D8: 7E684534
	v_rcp_f32_e32 v53, v53                                     // 0000000055DC: 7E6A4535
	v_mul_f32_e32 v184, v184, v50                              // 0000000055E0: 0B7065B8
	v_mul_f32_e32 v185, v185, v51                              // 0000000055E4: 0B7267B9
	v_mul_f32_e32 v186, v186, v52                              // 0000000055E8: 0B7469BA
	v_mul_f32_e32 v187, v187, v53                              // 0000000055EC: 0B766BBB
	buffer_load_dwordx4 a[120:123], v44, s[12:15], 0 offen     // 0000000055F0: E05C1000 8083782C
	v_mul_f32_e32 v50, v188, v188                              // 0000000055F8: 0A6579BC
	v_mul_f32_e32 v51, v189, v189                              // 0000000055FC: 0A677BBD
	v_mul_f32_e32 v52, v190, v190                              // 000000005600: 0A697DBE
	v_mul_f32_e32 v53, v191, v191                              // 000000005604: 0A6B7FBF
	v_fma_f32 v50, v50, s77, v1                                // 000000005608: D1CB0032 04049B32
	v_fma_f32 v51, v51, s77, v1                                // 000000005610: D1CB0033 04049B33
	v_fma_f32 v52, v52, s77, v1                                // 000000005618: D1CB0034 04049B34
	v_fma_f32 v53, v53, s77, v1                                // 000000005620: D1CB0035 04049B35
	v_mul_f32_e32 v50, v50, v188                               // 000000005628: 0A657932
	v_mul_f32_e32 v51, v51, v189                               // 00000000562C: 0A677B33
	v_mul_f32_e32 v52, v52, v190                               // 000000005630: 0A697D34
	v_mul_f32_e32 v53, v53, v191                               // 000000005634: 0A6B7F35
	v_mul_f32_e64 v50, v50, s6                                 // 000000005638: D1050032 00000D32
	v_mul_f32_e64 v51, v51, s6                                 // 000000005640: D1050033 00000D33
	v_mul_f32_e64 v52, v52, s6                                 // 000000005648: D1050034 00000D34
	v_mul_f32_e64 v53, v53, s6                                 // 000000005650: D1050035 00000D35
	v_exp_f32_e32 v50, v50                                     // 000000005658: 7E644132
	v_exp_f32_e32 v51, v51                                     // 00000000565C: 7E664133
	v_exp_f32_e32 v52, v52                                     // 000000005660: 7E684134
	v_exp_f32_e32 v53, v53                                     // 000000005664: 7E6A4135
	buffer_load_dwordx4 a[124:127], v45, s[12:15], 0 offen     // 000000005668: E05C1000 80837C2D
	v_add_f32_e64 v50, v50, 1.0                                // 000000005670: D1010032 0001E532
	v_add_f32_e64 v51, v51, 1.0                                // 000000005678: D1010033 0001E533
	v_add_f32_e64 v52, v52, 1.0                                // 000000005680: D1010034 0001E534
	v_add_f32_e64 v53, v53, 1.0                                // 000000005688: D1010035 0001E535
	v_rcp_f32_e32 v50, v50                                     // 000000005690: 7E644532
	v_rcp_f32_e32 v51, v51                                     // 000000005694: 7E664533
	v_rcp_f32_e32 v52, v52                                     // 000000005698: 7E684534
	v_rcp_f32_e32 v53, v53                                     // 00000000569C: 7E6A4535
	v_mul_f32_e32 v188, v188, v50                              // 0000000056A0: 0B7865BC
	v_mul_f32_e32 v189, v189, v51                              // 0000000056A4: 0B7A67BD
	v_mul_f32_e32 v190, v190, v52                              // 0000000056A8: 0B7C69BE
	v_mul_f32_e32 v191, v191, v53                              // 0000000056AC: 0B7E6BBF
	v_mul_f32_dpp v128, v18, v128 row_newbcast:0 row_mask:0xf bank_mask:0xf// 0000000056B0: 0B0100FA FF015012
	v_mul_f32_dpp v129, v18, v129 row_newbcast:1 row_mask:0xf bank_mask:0xf// 0000000056B8: 0B0302FA FF015112
	v_mul_f32_dpp v130, v18, v130 row_newbcast:2 row_mask:0xf bank_mask:0xf// 0000000056C0: 0B0504FA FF015212
	v_mul_f32_dpp v131, v18, v131 row_newbcast:3 row_mask:0xf bank_mask:0xf// 0000000056C8: 0B0706FA FF015312
	v_mul_f32_dpp v132, v18, v132 row_newbcast:0 row_mask:0xf bank_mask:0xf// 0000000056D0: 0B0908FA FF015012
	v_mul_f32_dpp v133, v18, v133 row_newbcast:1 row_mask:0xf bank_mask:0xf// 0000000056D8: 0B0B0AFA FF015112
	v_mul_f32_dpp v134, v18, v134 row_newbcast:2 row_mask:0xf bank_mask:0xf// 0000000056E0: 0B0D0CFA FF015212
	v_mul_f32_dpp v135, v18, v135 row_newbcast:3 row_mask:0xf bank_mask:0xf// 0000000056E8: 0B0F0EFA FF015312
	v_mul_f32_dpp v136, v18, v136 row_newbcast:4 row_mask:0xf bank_mask:0xf// 0000000056F0: 0B1110FA FF015412
	v_mul_f32_dpp v137, v18, v137 row_newbcast:5 row_mask:0xf bank_mask:0xf// 0000000056F8: 0B1312FA FF015512
	v_mul_f32_dpp v138, v18, v138 row_newbcast:6 row_mask:0xf bank_mask:0xf// 000000005700: 0B1514FA FF015612
	v_mul_f32_dpp v139, v18, v139 row_newbcast:7 row_mask:0xf bank_mask:0xf// 000000005708: 0B1716FA FF015712
	v_mul_f32_dpp v140, v18, v140 row_newbcast:4 row_mask:0xf bank_mask:0xf// 000000005710: 0B1918FA FF015412
	v_mul_f32_dpp v141, v18, v141 row_newbcast:5 row_mask:0xf bank_mask:0xf// 000000005718: 0B1B1AFA FF015512
	v_mul_f32_dpp v142, v18, v142 row_newbcast:6 row_mask:0xf bank_mask:0xf// 000000005720: 0B1D1CFA FF015612
	v_mul_f32_dpp v143, v18, v143 row_newbcast:7 row_mask:0xf bank_mask:0xf// 000000005728: 0B1F1EFA FF015712
	v_mul_f32_dpp v144, v18, v144 row_newbcast:8 row_mask:0xf bank_mask:0xf// 000000005730: 0B2120FA FF015812
	v_mul_f32_dpp v145, v18, v145 row_newbcast:9 row_mask:0xf bank_mask:0xf// 000000005738: 0B2322FA FF015912
	v_mul_f32_dpp v146, v18, v146 row_newbcast:10 row_mask:0xf bank_mask:0xf// 000000005740: 0B2524FA FF015A12
	v_mul_f32_dpp v147, v18, v147 row_newbcast:11 row_mask:0xf bank_mask:0xf// 000000005748: 0B2726FA FF015B12
	v_mul_f32_dpp v148, v18, v148 row_newbcast:8 row_mask:0xf bank_mask:0xf// 000000005750: 0B2928FA FF015812
	v_mul_f32_dpp v149, v18, v149 row_newbcast:9 row_mask:0xf bank_mask:0xf// 000000005758: 0B2B2AFA FF015912
	v_mul_f32_dpp v150, v18, v150 row_newbcast:10 row_mask:0xf bank_mask:0xf// 000000005760: 0B2D2CFA FF015A12
	v_mul_f32_dpp v151, v18, v151 row_newbcast:11 row_mask:0xf bank_mask:0xf// 000000005768: 0B2F2EFA FF015B12
	v_mul_f32_dpp v152, v18, v152 row_newbcast:12 row_mask:0xf bank_mask:0xf// 000000005770: 0B3130FA FF015C12
	v_mul_f32_dpp v153, v18, v153 row_newbcast:13 row_mask:0xf bank_mask:0xf// 000000005778: 0B3332FA FF015D12
	v_mul_f32_dpp v154, v18, v154 row_newbcast:14 row_mask:0xf bank_mask:0xf// 000000005780: 0B3534FA FF015E12
	v_mul_f32_dpp v155, v18, v155 row_newbcast:15 row_mask:0xf bank_mask:0xf// 000000005788: 0B3736FA FF015F12
	v_mul_f32_dpp v156, v18, v156 row_newbcast:12 row_mask:0xf bank_mask:0xf// 000000005790: 0B3938FA FF015C12
	v_mul_f32_dpp v157, v18, v157 row_newbcast:13 row_mask:0xf bank_mask:0xf// 000000005798: 0B3B3AFA FF015D12
	v_mul_f32_dpp v158, v18, v158 row_newbcast:14 row_mask:0xf bank_mask:0xf// 0000000057A0: 0B3D3CFA FF015E12
	v_mul_f32_dpp v159, v18, v159 row_newbcast:15 row_mask:0xf bank_mask:0xf// 0000000057A8: 0B3F3EFA FF015F12
	v_mul_f32_dpp v160, v19, v160 row_newbcast:0 row_mask:0xf bank_mask:0xf// 0000000057B0: 0B4140FA FF015013
	v_mul_f32_dpp v161, v19, v161 row_newbcast:1 row_mask:0xf bank_mask:0xf// 0000000057B8: 0B4342FA FF015113
	v_mul_f32_dpp v162, v19, v162 row_newbcast:2 row_mask:0xf bank_mask:0xf// 0000000057C0: 0B4544FA FF015213
	v_mul_f32_dpp v163, v19, v163 row_newbcast:3 row_mask:0xf bank_mask:0xf// 0000000057C8: 0B4746FA FF015313
	v_mul_f32_dpp v164, v19, v164 row_newbcast:0 row_mask:0xf bank_mask:0xf// 0000000057D0: 0B4948FA FF015013
	v_mul_f32_dpp v165, v19, v165 row_newbcast:1 row_mask:0xf bank_mask:0xf// 0000000057D8: 0B4B4AFA FF015113
	v_mul_f32_dpp v166, v19, v166 row_newbcast:2 row_mask:0xf bank_mask:0xf// 0000000057E0: 0B4D4CFA FF015213
	v_mul_f32_dpp v167, v19, v167 row_newbcast:3 row_mask:0xf bank_mask:0xf// 0000000057E8: 0B4F4EFA FF015313
	v_mul_f32_dpp v168, v19, v168 row_newbcast:4 row_mask:0xf bank_mask:0xf// 0000000057F0: 0B5150FA FF015413
	v_mul_f32_dpp v169, v19, v169 row_newbcast:5 row_mask:0xf bank_mask:0xf// 0000000057F8: 0B5352FA FF015513
	v_mul_f32_dpp v170, v19, v170 row_newbcast:6 row_mask:0xf bank_mask:0xf// 000000005800: 0B5554FA FF015613
	v_mul_f32_dpp v171, v19, v171 row_newbcast:7 row_mask:0xf bank_mask:0xf// 000000005808: 0B5756FA FF015713
	v_mul_f32_dpp v172, v19, v172 row_newbcast:4 row_mask:0xf bank_mask:0xf// 000000005810: 0B5958FA FF015413
	v_mul_f32_dpp v173, v19, v173 row_newbcast:5 row_mask:0xf bank_mask:0xf// 000000005818: 0B5B5AFA FF015513
	v_mul_f32_dpp v174, v19, v174 row_newbcast:6 row_mask:0xf bank_mask:0xf// 000000005820: 0B5D5CFA FF015613
	v_mul_f32_dpp v175, v19, v175 row_newbcast:7 row_mask:0xf bank_mask:0xf// 000000005828: 0B5F5EFA FF015713
	v_mul_f32_dpp v176, v19, v176 row_newbcast:8 row_mask:0xf bank_mask:0xf// 000000005830: 0B6160FA FF015813
	v_mul_f32_dpp v177, v19, v177 row_newbcast:9 row_mask:0xf bank_mask:0xf// 000000005838: 0B6362FA FF015913
	v_mul_f32_dpp v178, v19, v178 row_newbcast:10 row_mask:0xf bank_mask:0xf// 000000005840: 0B6564FA FF015A13
	v_mul_f32_dpp v179, v19, v179 row_newbcast:11 row_mask:0xf bank_mask:0xf// 000000005848: 0B6766FA FF015B13
	v_mul_f32_dpp v180, v19, v180 row_newbcast:8 row_mask:0xf bank_mask:0xf// 000000005850: 0B6968FA FF015813
	v_mul_f32_dpp v181, v19, v181 row_newbcast:9 row_mask:0xf bank_mask:0xf// 000000005858: 0B6B6AFA FF015913
	v_mul_f32_dpp v182, v19, v182 row_newbcast:10 row_mask:0xf bank_mask:0xf// 000000005860: 0B6D6CFA FF015A13
	v_mul_f32_dpp v183, v19, v183 row_newbcast:11 row_mask:0xf bank_mask:0xf// 000000005868: 0B6F6EFA FF015B13
	v_mul_f32_dpp v184, v19, v184 row_newbcast:12 row_mask:0xf bank_mask:0xf// 000000005870: 0B7170FA FF015C13
	v_mul_f32_dpp v185, v19, v185 row_newbcast:13 row_mask:0xf bank_mask:0xf// 000000005878: 0B7372FA FF015D13
	v_mul_f32_dpp v186, v19, v186 row_newbcast:14 row_mask:0xf bank_mask:0xf// 000000005880: 0B7574FA FF015E13
	v_mul_f32_dpp v187, v19, v187 row_newbcast:15 row_mask:0xf bank_mask:0xf// 000000005888: 0B7776FA FF015F13
	v_mul_f32_dpp v188, v19, v188 row_newbcast:12 row_mask:0xf bank_mask:0xf// 000000005890: 0B7978FA FF015C13
	v_mul_f32_dpp v189, v19, v189 row_newbcast:13 row_mask:0xf bank_mask:0xf// 000000005898: 0B7B7AFA FF015D13
	v_mul_f32_dpp v190, v19, v190 row_newbcast:14 row_mask:0xf bank_mask:0xf// 0000000058A0: 0B7D7CFA FF015E13
	v_mul_f32_dpp v191, v19, v191 row_newbcast:15 row_mask:0xf bank_mask:0xf// 0000000058A8: 0B7F7EFA FF015F13
	buffer_load_dword v12, v5, s[16:19], 0 offen               // 0000000058B0: E0501000 80040C05
	v_mov_b32_e32 v22, 0x358637bd                              // 0000000058B8: 7E2C02FF 358637BD
	v_mov_b32_e32 v23, 0x358637bd                              // 0000000058C0: 7E2E02FF 358637BD
	v_max3_f32 v22, |v128|, |v129|, v22                        // 0000000058C8: D1D30316 045B0380
	v_max3_f32 v22, |v130|, |v131|, v22                        // 0000000058D0: D1D30316 045B0782
	v_max3_f32 v23, |v132|, |v133|, v23                        // 0000000058D8: D1D30317 045F0B84
	v_max3_f32 v23, |v134|, |v135|, v23                        // 0000000058E0: D1D30317 045F0F86
	v_max3_f32 v22, |v136|, |v137|, v22                        // 0000000058E8: D1D30316 045B1388
	v_max3_f32 v22, |v138|, |v139|, v22                        // 0000000058F0: D1D30316 045B178A
	v_max3_f32 v23, |v140|, |v141|, v23                        // 0000000058F8: D1D30317 045F1B8C
	v_max3_f32 v23, |v142|, |v143|, v23                        // 000000005900: D1D30317 045F1F8E
	v_max3_f32 v22, |v144|, |v145|, v22                        // 000000005908: D1D30316 045B2390
	v_max3_f32 v22, |v146|, |v147|, v22                        // 000000005910: D1D30316 045B2792
	v_max3_f32 v23, |v148|, |v149|, v23                        // 000000005918: D1D30317 045F2B94
	v_max3_f32 v23, |v150|, |v151|, v23                        // 000000005920: D1D30317 045F2F96
	v_max3_f32 v22, |v152|, |v153|, v22                        // 000000005928: D1D30316 045B3398
	v_max3_f32 v22, |v154|, |v155|, v22                        // 000000005930: D1D30316 045B379A
	v_max3_f32 v23, |v156|, |v157|, v23                        // 000000005938: D1D30317 045F3B9C
	v_max3_f32 v23, |v158|, |v159|, v23                        // 000000005940: D1D30317 045F3F9E
	v_max3_f32 v22, |v160|, |v161|, v22                        // 000000005948: D1D30316 045B43A0
	v_max3_f32 v22, |v162|, |v163|, v22                        // 000000005950: D1D30316 045B47A2
	v_max3_f32 v23, |v164|, |v165|, v23                        // 000000005958: D1D30317 045F4BA4
	v_max3_f32 v23, |v166|, |v167|, v23                        // 000000005960: D1D30317 045F4FA6
	v_max3_f32 v22, |v168|, |v169|, v22                        // 000000005968: D1D30316 045B53A8
	v_max3_f32 v22, |v170|, |v171|, v22                        // 000000005970: D1D30316 045B57AA
	v_max3_f32 v23, |v172|, |v173|, v23                        // 000000005978: D1D30317 045F5BAC
	v_max3_f32 v23, |v174|, |v175|, v23                        // 000000005980: D1D30317 045F5FAE
	v_max3_f32 v22, |v176|, |v177|, v22                        // 000000005988: D1D30316 045B63B0
	v_max3_f32 v22, |v178|, |v179|, v22                        // 000000005990: D1D30316 045B67B2
	v_max3_f32 v23, |v180|, |v181|, v23                        // 000000005998: D1D30317 045F6BB4
	v_max3_f32 v23, |v182|, |v183|, v23                        // 0000000059A0: D1D30317 045F6FB6
	v_max3_f32 v22, |v184|, |v185|, v22                        // 0000000059A8: D1D30316 045B73B8
	v_max3_f32 v22, |v186|, |v187|, v22                        // 0000000059B0: D1D30316 045B77BA
	v_max3_f32 v23, |v188|, |v189|, v23                        // 0000000059B8: D1D30317 045F7BBC
	v_max3_f32 v23, |v190|, |v191|, v23                        // 0000000059C0: D1D30317 045F7FBE
	v_lshlrev_b32_e32 v50, 3, v0                               // 0000000059C8: 24640083
	s_mul_i32 s60, 0x200, s7                                   // 0000000059CC: 923C07FF 00000200
	v_add_u32_e32 v50, s60, v50                                // 0000000059D4: 6864643C
	ds_write_b64 v50, v[22:23] offset:16640                    // 0000000059D8: D89A4100 00001632
	s_waitcnt lgkmcnt(0)                                       // 0000000059E0: BF8CC07F
	s_barrier                                                  // 0000000059E4: BF8A0000
	v_and_b32_e32 v50, 15, v0                                  // 0000000059E8: 2664008F
	v_lshlrev_b32_e32 v50, 3, v50                              // 0000000059EC: 24646483
	ds_read_b64 v[96:97], v50 offset:16640                     // 0000000059F0: D8EC4100 60000032
	ds_read_b64 v[98:99], v50 offset:16768                     // 0000000059F8: D8EC4180 62000032
	ds_read_b64 v[100:101], v50 offset:16896                   // 000000005A00: D8EC4200 64000032
	ds_read_b64 v[102:103], v50 offset:17024                   // 000000005A08: D8EC4280 66000032
	ds_read_b64 v[104:105], v50 offset:17152                   // 000000005A10: D8EC4300 68000032
	ds_read_b64 v[106:107], v50 offset:17280                   // 000000005A18: D8EC4380 6A000032
	ds_read_b64 v[108:109], v50 offset:17408                   // 000000005A20: D8EC4400 6C000032
	ds_read_b64 v[110:111], v50 offset:17536                   // 000000005A28: D8EC4480 6E000032
	ds_read_b64 v[112:113], v50 offset:17664                   // 000000005A30: D8EC4500 70000032
	ds_read_b64 v[114:115], v50 offset:17792                   // 000000005A38: D8EC4580 72000032
	ds_read_b64 v[116:117], v50 offset:17920                   // 000000005A40: D8EC4600 74000032
	ds_read_b64 v[118:119], v50 offset:18048                   // 000000005A48: D8EC4680 76000032
	ds_read_b64 v[120:121], v50 offset:18176                   // 000000005A50: D8EC4700 78000032
	ds_read_b64 v[122:123], v50 offset:18304                   // 000000005A58: D8EC4780 7A000032
	ds_read_b64 v[124:125], v50 offset:18432                   // 000000005A60: D8EC4800 7C000032
	ds_read_b64 v[126:127], v50 offset:18560                   // 000000005A68: D8EC4880 7E000032
	s_waitcnt lgkmcnt(0)                                       // 000000005A70: BF8CC07F
	v_max3_f32 v22, |v96|, |v98|, v22                          // 000000005A74: D1D30316 045AC560
	v_max3_f32 v23, |v97|, |v99|, v23                          // 000000005A7C: D1D30317 045EC761
	v_max3_f32 v22, |v100|, |v102|, v22                        // 000000005A84: D1D30316 045ACD64
	v_max3_f32 v23, |v101|, |v103|, v23                        // 000000005A8C: D1D30317 045ECF65
	v_max3_f32 v22, |v104|, |v106|, v22                        // 000000005A94: D1D30316 045AD568
	v_max3_f32 v23, |v105|, |v107|, v23                        // 000000005A9C: D1D30317 045ED769
	v_max3_f32 v22, |v108|, |v110|, v22                        // 000000005AA4: D1D30316 045ADD6C
	v_max3_f32 v23, |v109|, |v111|, v23                        // 000000005AAC: D1D30317 045EDF6D
	v_max3_f32 v22, |v112|, |v114|, v22                        // 000000005AB4: D1D30316 045AE570
	v_max3_f32 v23, |v113|, |v115|, v23                        // 000000005ABC: D1D30317 045EE771
	v_max3_f32 v22, |v116|, |v118|, v22                        // 000000005AC4: D1D30316 045AED74
	v_max3_f32 v23, |v117|, |v119|, v23                        // 000000005ACC: D1D30317 045EEF75
	v_max3_f32 v22, |v120|, |v122|, v22                        // 000000005AD4: D1D30316 045AF578
	v_max3_f32 v23, |v121|, |v123|, v23                        // 000000005ADC: D1D30317 045EF779
	v_max3_f32 v22, |v124|, |v126|, v22                        // 000000005AE4: D1D30316 045AFD7C
	v_max3_f32 v23, |v125|, |v127|, v23                        // 000000005AEC: D1D30317 045EFF7D
	v_rcp_f32_e32 v22, v22                                     // 000000005AF4: 7E2C4516
	v_rcp_f32_e32 v23, v23                                     // 000000005AF8: 7E2E4517
	v_mul_f32_e32 v22, 0x42fe0000, v22                         // 000000005AFC: 0A2C2CFF 42FE0000
	v_mul_f32_e32 v23, 0x42fe0000, v23                         // 000000005B04: 0A2E2EFF 42FE0000
	v_mul_f32_e32 v128, v22, v128                              // 000000005B0C: 0B010116
	v_mul_f32_e32 v129, v22, v129                              // 000000005B10: 0B030316
	v_mul_f32_e32 v130, v22, v130                              // 000000005B14: 0B050516
	v_mul_f32_e32 v131, v22, v131                              // 000000005B18: 0B070716
	v_cvt_i32_f32_e32 v128, v128                               // 000000005B1C: 7F001180
	v_cvt_i32_f32_e32 v129, v129                               // 000000005B20: 7F021181
	v_cvt_i32_f32_e32 v130, v130                               // 000000005B24: 7F041182
	v_cvt_i32_f32_e32 v131, v131                               // 000000005B28: 7F061183
	v_perm_b32 v128, v129, v128, s53                           // 000000005B2C: D1ED0080 00D70181
	v_perm_b32 v128, v130, v128, s54                           // 000000005B34: D1ED0080 00DB0182
	v_perm_b32 v128, v131, v128, s55                           // 000000005B3C: D1ED0080 00DF0183
	v_mul_f32_e32 v132, v23, v132                              // 000000005B44: 0B090917
	v_mul_f32_e32 v133, v23, v133                              // 000000005B48: 0B0B0B17
	v_mul_f32_e32 v134, v23, v134                              // 000000005B4C: 0B0D0D17
	v_mul_f32_e32 v135, v23, v135                              // 000000005B50: 0B0F0F17
	v_cvt_i32_f32_e32 v132, v132                               // 000000005B54: 7F081184
	v_cvt_i32_f32_e32 v133, v133                               // 000000005B58: 7F0A1185
	v_cvt_i32_f32_e32 v134, v134                               // 000000005B5C: 7F0C1186
	v_cvt_i32_f32_e32 v135, v135                               // 000000005B60: 7F0E1187
	v_perm_b32 v129, v133, v132, s53                           // 000000005B64: D1ED0081 00D70985
	v_perm_b32 v129, v134, v129, s54                           // 000000005B6C: D1ED0081 00DB0386
	v_perm_b32 v129, v135, v129, s55                           // 000000005B74: D1ED0081 00DF0387
	v_mul_f32_e32 v136, v22, v136                              // 000000005B7C: 0B111116
	v_mul_f32_e32 v137, v22, v137                              // 000000005B80: 0B131316
	v_mul_f32_e32 v138, v22, v138                              // 000000005B84: 0B151516
	v_mul_f32_e32 v139, v22, v139                              // 000000005B88: 0B171716
	v_cvt_i32_f32_e32 v136, v136                               // 000000005B8C: 7F101188
	v_cvt_i32_f32_e32 v137, v137                               // 000000005B90: 7F121189
	v_cvt_i32_f32_e32 v138, v138                               // 000000005B94: 7F14118A
	v_cvt_i32_f32_e32 v139, v139                               // 000000005B98: 7F16118B
	v_perm_b32 v130, v137, v136, s53                           // 000000005B9C: D1ED0082 00D71189
	v_perm_b32 v130, v138, v130, s54                           // 000000005BA4: D1ED0082 00DB058A
	v_perm_b32 v130, v139, v130, s55                           // 000000005BAC: D1ED0082 00DF058B
	v_mul_f32_e32 v140, v23, v140                              // 000000005BB4: 0B191917
	v_mul_f32_e32 v141, v23, v141                              // 000000005BB8: 0B1B1B17
	v_mul_f32_e32 v142, v23, v142                              // 000000005BBC: 0B1D1D17
	v_mul_f32_e32 v143, v23, v143                              // 000000005BC0: 0B1F1F17
	v_cvt_i32_f32_e32 v140, v140                               // 000000005BC4: 7F18118C
	v_cvt_i32_f32_e32 v141, v141                               // 000000005BC8: 7F1A118D
	v_cvt_i32_f32_e32 v142, v142                               // 000000005BCC: 7F1C118E
	v_cvt_i32_f32_e32 v143, v143                               // 000000005BD0: 7F1E118F
	v_perm_b32 v131, v141, v140, s53                           // 000000005BD4: D1ED0083 00D7198D
	v_perm_b32 v131, v142, v131, s54                           // 000000005BDC: D1ED0083 00DB078E
	v_perm_b32 v131, v143, v131, s55                           // 000000005BE4: D1ED0083 00DF078F
	v_mul_f32_e32 v144, v22, v144                              // 000000005BEC: 0B212116
	v_mul_f32_e32 v145, v22, v145                              // 000000005BF0: 0B232316
	v_mul_f32_e32 v146, v22, v146                              // 000000005BF4: 0B252516
	v_mul_f32_e32 v147, v22, v147                              // 000000005BF8: 0B272716
	v_cvt_i32_f32_e32 v144, v144                               // 000000005BFC: 7F201190
	v_cvt_i32_f32_e32 v145, v145                               // 000000005C00: 7F221191
	v_cvt_i32_f32_e32 v146, v146                               // 000000005C04: 7F241192
	v_cvt_i32_f32_e32 v147, v147                               // 000000005C08: 7F261193
	v_perm_b32 v132, v145, v144, s53                           // 000000005C0C: D1ED0084 00D72191
	v_perm_b32 v132, v146, v132, s54                           // 000000005C14: D1ED0084 00DB0992
	v_perm_b32 v132, v147, v132, s55                           // 000000005C1C: D1ED0084 00DF0993
	v_mul_f32_e32 v148, v23, v148                              // 000000005C24: 0B292917
	v_mul_f32_e32 v149, v23, v149                              // 000000005C28: 0B2B2B17
	v_mul_f32_e32 v150, v23, v150                              // 000000005C2C: 0B2D2D17
	v_mul_f32_e32 v151, v23, v151                              // 000000005C30: 0B2F2F17
	v_cvt_i32_f32_e32 v148, v148                               // 000000005C34: 7F281194
	v_cvt_i32_f32_e32 v149, v149                               // 000000005C38: 7F2A1195
	v_cvt_i32_f32_e32 v150, v150                               // 000000005C3C: 7F2C1196
	v_cvt_i32_f32_e32 v151, v151                               // 000000005C40: 7F2E1197
	v_perm_b32 v133, v149, v148, s53                           // 000000005C44: D1ED0085 00D72995
	v_perm_b32 v133, v150, v133, s54                           // 000000005C4C: D1ED0085 00DB0B96
	v_perm_b32 v133, v151, v133, s55                           // 000000005C54: D1ED0085 00DF0B97
	v_mul_f32_e32 v152, v22, v152                              // 000000005C5C: 0B313116
	v_mul_f32_e32 v153, v22, v153                              // 000000005C60: 0B333316
	v_mul_f32_e32 v154, v22, v154                              // 000000005C64: 0B353516
	v_mul_f32_e32 v155, v22, v155                              // 000000005C68: 0B373716
	v_cvt_i32_f32_e32 v152, v152                               // 000000005C6C: 7F301198
	v_cvt_i32_f32_e32 v153, v153                               // 000000005C70: 7F321199
	v_cvt_i32_f32_e32 v154, v154                               // 000000005C74: 7F34119A
	v_cvt_i32_f32_e32 v155, v155                               // 000000005C78: 7F36119B
	v_perm_b32 v134, v153, v152, s53                           // 000000005C7C: D1ED0086 00D73199
	v_perm_b32 v134, v154, v134, s54                           // 000000005C84: D1ED0086 00DB0D9A
	v_perm_b32 v134, v155, v134, s55                           // 000000005C8C: D1ED0086 00DF0D9B
	v_mul_f32_e32 v156, v23, v156                              // 000000005C94: 0B393917
	v_mul_f32_e32 v157, v23, v157                              // 000000005C98: 0B3B3B17
	v_mul_f32_e32 v158, v23, v158                              // 000000005C9C: 0B3D3D17
	v_mul_f32_e32 v159, v23, v159                              // 000000005CA0: 0B3F3F17
	v_cvt_i32_f32_e32 v156, v156                               // 000000005CA4: 7F38119C
	v_cvt_i32_f32_e32 v157, v157                               // 000000005CA8: 7F3A119D
	v_cvt_i32_f32_e32 v158, v158                               // 000000005CAC: 7F3C119E
	v_cvt_i32_f32_e32 v159, v159                               // 000000005CB0: 7F3E119F
	v_perm_b32 v135, v157, v156, s53                           // 000000005CB4: D1ED0087 00D7399D
	v_perm_b32 v135, v158, v135, s54                           // 000000005CBC: D1ED0087 00DB0F9E
	v_perm_b32 v135, v159, v135, s55                           // 000000005CC4: D1ED0087 00DF0F9F
	v_mul_f32_e32 v160, v22, v160                              // 000000005CCC: 0B414116
	v_mul_f32_e32 v161, v22, v161                              // 000000005CD0: 0B434316
	v_mul_f32_e32 v162, v22, v162                              // 000000005CD4: 0B454516
	v_mul_f32_e32 v163, v22, v163                              // 000000005CD8: 0B474716
	v_cvt_i32_f32_e32 v160, v160                               // 000000005CDC: 7F4011A0
	v_cvt_i32_f32_e32 v161, v161                               // 000000005CE0: 7F4211A1
	v_cvt_i32_f32_e32 v162, v162                               // 000000005CE4: 7F4411A2
	v_cvt_i32_f32_e32 v163, v163                               // 000000005CE8: 7F4611A3
	v_perm_b32 v136, v161, v160, s53                           // 000000005CEC: D1ED0088 00D741A1
	v_perm_b32 v136, v162, v136, s54                           // 000000005CF4: D1ED0088 00DB11A2
	v_perm_b32 v136, v163, v136, s55                           // 000000005CFC: D1ED0088 00DF11A3
	v_mul_f32_e32 v164, v23, v164                              // 000000005D04: 0B494917
	v_mul_f32_e32 v165, v23, v165                              // 000000005D08: 0B4B4B17
	v_mul_f32_e32 v166, v23, v166                              // 000000005D0C: 0B4D4D17
	v_mul_f32_e32 v167, v23, v167                              // 000000005D10: 0B4F4F17
	v_cvt_i32_f32_e32 v164, v164                               // 000000005D14: 7F4811A4
	v_cvt_i32_f32_e32 v165, v165                               // 000000005D18: 7F4A11A5
	v_cvt_i32_f32_e32 v166, v166                               // 000000005D1C: 7F4C11A6
	v_cvt_i32_f32_e32 v167, v167                               // 000000005D20: 7F4E11A7
	v_perm_b32 v137, v165, v164, s53                           // 000000005D24: D1ED0089 00D749A5
	v_perm_b32 v137, v166, v137, s54                           // 000000005D2C: D1ED0089 00DB13A6
	v_perm_b32 v137, v167, v137, s55                           // 000000005D34: D1ED0089 00DF13A7
	v_mul_f32_e32 v168, v22, v168                              // 000000005D3C: 0B515116
	v_mul_f32_e32 v169, v22, v169                              // 000000005D40: 0B535316
	v_mul_f32_e32 v170, v22, v170                              // 000000005D44: 0B555516
	v_mul_f32_e32 v171, v22, v171                              // 000000005D48: 0B575716
	v_cvt_i32_f32_e32 v168, v168                               // 000000005D4C: 7F5011A8
	v_cvt_i32_f32_e32 v169, v169                               // 000000005D50: 7F5211A9
	v_cvt_i32_f32_e32 v170, v170                               // 000000005D54: 7F5411AA
	v_cvt_i32_f32_e32 v171, v171                               // 000000005D58: 7F5611AB
	v_perm_b32 v138, v169, v168, s53                           // 000000005D5C: D1ED008A 00D751A9
	v_perm_b32 v138, v170, v138, s54                           // 000000005D64: D1ED008A 00DB15AA
	v_perm_b32 v138, v171, v138, s55                           // 000000005D6C: D1ED008A 00DF15AB
	v_mul_f32_e32 v172, v23, v172                              // 000000005D74: 0B595917
	v_mul_f32_e32 v173, v23, v173                              // 000000005D78: 0B5B5B17
	v_mul_f32_e32 v174, v23, v174                              // 000000005D7C: 0B5D5D17
	v_mul_f32_e32 v175, v23, v175                              // 000000005D80: 0B5F5F17
	v_cvt_i32_f32_e32 v172, v172                               // 000000005D84: 7F5811AC
	v_cvt_i32_f32_e32 v173, v173                               // 000000005D88: 7F5A11AD
	v_cvt_i32_f32_e32 v174, v174                               // 000000005D8C: 7F5C11AE
	v_cvt_i32_f32_e32 v175, v175                               // 000000005D90: 7F5E11AF
	v_perm_b32 v139, v173, v172, s53                           // 000000005D94: D1ED008B 00D759AD
	v_perm_b32 v139, v174, v139, s54                           // 000000005D9C: D1ED008B 00DB17AE
	v_perm_b32 v139, v175, v139, s55                           // 000000005DA4: D1ED008B 00DF17AF
	v_mul_f32_e32 v176, v22, v176                              // 000000005DAC: 0B616116
	v_mul_f32_e32 v177, v22, v177                              // 000000005DB0: 0B636316
	v_mul_f32_e32 v178, v22, v178                              // 000000005DB4: 0B656516
	v_mul_f32_e32 v179, v22, v179                              // 000000005DB8: 0B676716
	v_cvt_i32_f32_e32 v176, v176                               // 000000005DBC: 7F6011B0
	v_cvt_i32_f32_e32 v177, v177                               // 000000005DC0: 7F6211B1
	v_cvt_i32_f32_e32 v178, v178                               // 000000005DC4: 7F6411B2
	v_cvt_i32_f32_e32 v179, v179                               // 000000005DC8: 7F6611B3
	v_perm_b32 v140, v177, v176, s53                           // 000000005DCC: D1ED008C 00D761B1
	v_perm_b32 v140, v178, v140, s54                           // 000000005DD4: D1ED008C 00DB19B2
	v_perm_b32 v140, v179, v140, s55                           // 000000005DDC: D1ED008C 00DF19B3
	v_mul_f32_e32 v180, v23, v180                              // 000000005DE4: 0B696917
	v_mul_f32_e32 v181, v23, v181                              // 000000005DE8: 0B6B6B17
	v_mul_f32_e32 v182, v23, v182                              // 000000005DEC: 0B6D6D17
	v_mul_f32_e32 v183, v23, v183                              // 000000005DF0: 0B6F6F17
	v_cvt_i32_f32_e32 v180, v180                               // 000000005DF4: 7F6811B4
	v_cvt_i32_f32_e32 v181, v181                               // 000000005DF8: 7F6A11B5
	v_cvt_i32_f32_e32 v182, v182                               // 000000005DFC: 7F6C11B6
	v_cvt_i32_f32_e32 v183, v183                               // 000000005E00: 7F6E11B7
	v_perm_b32 v141, v181, v180, s53                           // 000000005E04: D1ED008D 00D769B5
	v_perm_b32 v141, v182, v141, s54                           // 000000005E0C: D1ED008D 00DB1BB6
	v_perm_b32 v141, v183, v141, s55                           // 000000005E14: D1ED008D 00DF1BB7
	v_mul_f32_e32 v184, v22, v184                              // 000000005E1C: 0B717116
	v_mul_f32_e32 v185, v22, v185                              // 000000005E20: 0B737316
	v_mul_f32_e32 v186, v22, v186                              // 000000005E24: 0B757516
	v_mul_f32_e32 v187, v22, v187                              // 000000005E28: 0B777716
	v_cvt_i32_f32_e32 v184, v184                               // 000000005E2C: 7F7011B8
	v_cvt_i32_f32_e32 v185, v185                               // 000000005E30: 7F7211B9
	v_cvt_i32_f32_e32 v186, v186                               // 000000005E34: 7F7411BA
	v_cvt_i32_f32_e32 v187, v187                               // 000000005E38: 7F7611BB
	v_perm_b32 v142, v185, v184, s53                           // 000000005E3C: D1ED008E 00D771B9
	v_perm_b32 v142, v186, v142, s54                           // 000000005E44: D1ED008E 00DB1DBA
	v_perm_b32 v142, v187, v142, s55                           // 000000005E4C: D1ED008E 00DF1DBB
	v_mul_f32_e32 v188, v23, v188                              // 000000005E54: 0B797917
	v_mul_f32_e32 v189, v23, v189                              // 000000005E58: 0B7B7B17
	v_mul_f32_e32 v190, v23, v190                              // 000000005E5C: 0B7D7D17
	v_mul_f32_e32 v191, v23, v191                              // 000000005E60: 0B7F7F17
	v_cvt_i32_f32_e32 v188, v188                               // 000000005E64: 7F7811BC
	v_cvt_i32_f32_e32 v189, v189                               // 000000005E68: 7F7A11BD
	v_cvt_i32_f32_e32 v190, v190                               // 000000005E6C: 7F7C11BE
	v_cvt_i32_f32_e32 v191, v191                               // 000000005E70: 7F7E11BF
	v_perm_b32 v143, v189, v188, s53                           // 000000005E74: D1ED008F 00D779BD
	v_perm_b32 v143, v190, v143, s54                           // 000000005E7C: D1ED008F 00DB1FBE
	v_perm_b32 v143, v191, v143, s55                           // 000000005E84: D1ED008F 00DF1FBF
	v_rcp_f32_e32 v24, v22                                     // 000000005E8C: 7E304516
	v_rcp_f32_e32 v25, v23                                     // 000000005E90: 7E324517
	v_lshrrev_b32_e32 v50, 5, v0                               // 000000005E94: 20640085
	v_lshlrev_b32_e32 v51, 5, v50                              // 000000005E98: 24666485
	v_and_b32_e32 v50, 31, v0                                  // 000000005E9C: 2664009F
	v_lshrrev_b32_e32 v52, 4, v50                              // 000000005EA0: 20686484
	v_add_u32_e32 v51, v52, v51                                // 000000005EA4: 68666734
	v_and_b32_e32 v50, 15, v0                                  // 000000005EA8: 2664008F
	v_lshlrev_b32_e32 v50, 1, v50                              // 000000005EAC: 24646481
	v_add_u32_e32 v51, v50, v51                                // 000000005EB0: 68666732
	v_lshlrev_b32_e32 v50, 2, v51                              // 000000005EB4: 24646682
	s_mul_i32 s60, 0x100, s7                                   // 000000005EB8: 923C07FF 00000100
	v_add_u32_e64 v50, v50, s60                                // 000000005EC0: D1340032 00007932
	ds_write_b32 v50, v128 offset:18688                        // 000000005EC8: D81A4900 00008032
	ds_write_b32 v50, v129 offset:26880                        // 000000005ED0: D81A6900 00008132
	ds_write_b32 v50, v130 offset:19712                        // 000000005ED8: D81A4D00 00008232
	ds_write_b32 v50, v131 offset:27904                        // 000000005EE0: D81A6D00 00008332
	ds_write_b32 v50, v132 offset:20736                        // 000000005EE8: D81A5100 00008432
	ds_write_b32 v50, v133 offset:28928                        // 000000005EF0: D81A7100 00008532
	ds_write_b32 v50, v134 offset:21760                        // 000000005EF8: D81A5500 00008632
	ds_write_b32 v50, v135 offset:29952                        // 000000005F00: D81A7500 00008732
	ds_write_b32 v50, v136 offset:22784                        // 000000005F08: D81A5900 00008832
	ds_write_b32 v50, v137 offset:30976                        // 000000005F10: D81A7900 00008932
	ds_write_b32 v50, v138 offset:23808                        // 000000005F18: D81A5D00 00008A32
	ds_write_b32 v50, v139 offset:32000                        // 000000005F20: D81A7D00 00008B32
	ds_write_b32 v50, v140 offset:24832                        // 000000005F28: D81A6100 00008C32
	ds_write_b32 v50, v141 offset:33024                        // 000000005F30: D81A8100 00008D32
	ds_write_b32 v50, v142 offset:25856                        // 000000005F38: D81A6500 00008E32
	ds_write_b32 v50, v143 offset:34048                        // 000000005F40: D81A8500 00008F32
	s_waitcnt lgkmcnt(0)                                       // 000000005F48: BF8CC07F
	s_barrier                                                  // 000000005F4C: BF8A0000
	v_lshrrev_b32_e32 v50, 4, v0                               // 000000005F50: 20640084
	v_lshlrev_b32_e32 v51, 6, v50                              // 000000005F54: 24666486
	v_and_b32_e32 v50, 15, v0                                  // 000000005F58: 2664008F
	v_lshlrev_b32_e32 v50, 1, v50                              // 000000005F5C: 24646481
	v_add_u32_e32 v51, v50, v51                                // 000000005F60: 68666732
	v_lshlrev_b32_e32 v50, 2, v51                              // 000000005F64: 24646682
	ds_read_b64 v[128:129], v50 offset:18688                   // 000000005F68: D8EC4900 80000032
	ds_read_b64 v[130:131], v50 offset:18816                   // 000000005F70: D8EC4980 82000032
	ds_read_b64 v[132:133], v50 offset:19712                   // 000000005F78: D8EC4D00 84000032
	ds_read_b64 v[134:135], v50 offset:19840                   // 000000005F80: D8EC4D80 86000032
	ds_read_b64 v[136:137], v50 offset:20736                   // 000000005F88: D8EC5100 88000032
	ds_read_b64 v[138:139], v50 offset:20864                   // 000000005F90: D8EC5180 8A000032
	ds_read_b64 v[140:141], v50 offset:21760                   // 000000005F98: D8EC5500 8C000032
	ds_read_b64 v[142:143], v50 offset:21888                   // 000000005FA0: D8EC5580 8E000032
	ds_read_b64 v[144:145], v50 offset:22784                   // 000000005FA8: D8EC5900 90000032
	ds_read_b64 v[146:147], v50 offset:22912                   // 000000005FB0: D8EC5980 92000032
	ds_read_b64 v[148:149], v50 offset:23808                   // 000000005FB8: D8EC5D00 94000032
	ds_read_b64 v[150:151], v50 offset:23936                   // 000000005FC0: D8EC5D80 96000032
	ds_read_b64 v[152:153], v50 offset:24832                   // 000000005FC8: D8EC6100 98000032
	ds_read_b64 v[154:155], v50 offset:24960                   // 000000005FD0: D8EC6180 9A000032
	ds_read_b64 v[156:157], v50 offset:25856                   // 000000005FD8: D8EC6500 9C000032
	ds_read_b64 v[158:159], v50 offset:25984                   // 000000005FE0: D8EC6580 9E000032
	ds_read_b64 v[160:161], v50 offset:26880                   // 000000005FE8: D8EC6900 A0000032
	ds_read_b64 v[162:163], v50 offset:27008                   // 000000005FF0: D8EC6980 A2000032
	ds_read_b64 v[164:165], v50 offset:27904                   // 000000005FF8: D8EC6D00 A4000032
	ds_read_b64 v[166:167], v50 offset:28032                   // 000000006000: D8EC6D80 A6000032
	ds_read_b64 v[168:169], v50 offset:28928                   // 000000006008: D8EC7100 A8000032
	ds_read_b64 v[170:171], v50 offset:29056                   // 000000006010: D8EC7180 AA000032
	ds_read_b64 v[172:173], v50 offset:29952                   // 000000006018: D8EC7500 AC000032
	ds_read_b64 v[174:175], v50 offset:30080                   // 000000006020: D8EC7580 AE000032
	ds_read_b64 v[176:177], v50 offset:30976                   // 000000006028: D8EC7900 B0000032
	ds_read_b64 v[178:179], v50 offset:31104                   // 000000006030: D8EC7980 B2000032
	ds_read_b64 v[180:181], v50 offset:32000                   // 000000006038: D8EC7D00 B4000032
	ds_read_b64 v[182:183], v50 offset:32128                   // 000000006040: D8EC7D80 B6000032
	ds_read_b64 v[184:185], v50 offset:33024                   // 000000006048: D8EC8100 B8000032
	ds_read_b64 v[186:187], v50 offset:33152                   // 000000006050: D8EC8180 BA000032
	ds_read_b64 v[188:189], v50 offset:34048                   // 000000006058: D8EC8500 BC000032
	ds_read_b64 v[190:191], v50 offset:34176                   // 000000006060: D8EC8580 BE000032
	s_add_u32 s12, s56, s12                                    // 000000006068: 800C0C38
	s_addc_u32 s13, 0, s13                                     // 00000000606C: 820D0D80
	s_add_u32 s16, s79, s16                                    // 000000006070: 8010104F
	s_addc_u32 s17, 0, s17                                     // 000000006074: 82111180
	s_mov_b32 s80, 0                                           // 000000006078: BED00080
	s_waitcnt vmcnt(0) expcnt(0) lgkmcnt(0)                    // 00000000607C: BF8C0000

0000000000006080 <label_0CA0>:
	s_waitcnt vmcnt(45)                                        // 000000006080: BF8C8F7D
	s_barrier                                                  // 000000006084: BF8A0000
	v_mfma_i32_16x16x32_i8 v[192:195], a[0:1], v[128:129], 0   // 000000006088: D3D700C0 0A030100
	v_mfma_i32_16x16x32_i8 v[192:195], a[2:3], v[130:131], v[192:195]// 000000006090: D3D700C0 0F030502
	buffer_load_dwordx4 a[128:131], v42, s[12:15], 0 offen     // 000000006098: E05C1000 8083802A
	v_mfma_i32_16x16x32_i8 v[196:199], a[0:1], v[160:161], 0   // 0000000060A0: D3D700C4 0A034100
	v_mfma_i32_16x16x32_i8 v[196:199], a[2:3], v[162:163], v[196:199]// 0000000060A8: D3D700C4 0F134502
	v_mfma_i32_16x16x32_i8 v[200:203], a[4:5], v[128:129], 0   // 0000000060B0: D3D700C8 0A030104
	v_mfma_i32_16x16x32_i8 v[200:203], a[6:7], v[130:131], v[200:203]// 0000000060B8: D3D700C8 0F230506
	buffer_load_dwordx4 a[132:135], v43, s[12:15], 0 offen     // 0000000060C0: E05C1000 8083842B
	v_mfma_i32_16x16x32_i8 v[204:207], a[4:5], v[160:161], 0   // 0000000060C8: D3D700CC 0A034104
	v_mfma_i32_16x16x32_i8 v[204:207], a[6:7], v[162:163], v[204:207]// 0000000060D0: D3D700CC 0F334506
	v_mfma_i32_16x16x32_i8 v[208:211], a[8:9], v[128:129], 0   // 0000000060D8: D3D700D0 0A030108
	v_mfma_i32_16x16x32_i8 v[208:211], a[10:11], v[130:131], v[208:211]// 0000000060E0: D3D700D0 0F43050A
	buffer_load_dwordx4 a[136:139], v44, s[12:15], 0 offen     // 0000000060E8: E05C1000 8083882C
	v_mfma_i32_16x16x32_i8 v[212:215], a[8:9], v[160:161], 0   // 0000000060F0: D3D700D4 0A034108
	v_mfma_i32_16x16x32_i8 v[212:215], a[10:11], v[162:163], v[212:215]// 0000000060F8: D3D700D4 0F53450A
	v_mfma_i32_16x16x32_i8 v[216:219], a[12:13], v[128:129], 0 // 000000006100: D3D700D8 0A03010C
	v_mfma_i32_16x16x32_i8 v[216:219], a[14:15], v[130:131], v[216:219]// 000000006108: D3D700D8 0F63050E
	buffer_load_dwordx4 a[140:143], v45, s[12:15], 0 offen     // 000000006110: E05C1000 80838C2D
	s_add_u32 s12, s78, s12                                    // 000000006118: 800C0C4E
	s_addc_u32 s13, 0, s13                                     // 00000000611C: 820D0D80
	v_mfma_i32_16x16x32_i8 v[220:223], a[12:13], v[160:161], 0 // 000000006120: D3D700DC 0A03410C
	v_mfma_i32_16x16x32_i8 v[220:223], a[14:15], v[162:163], v[220:223]// 000000006128: D3D700DC 0F73450E
	s_waitcnt vmcnt(45)                                        // 000000006130: BF8C8F7D
	v_mfma_i32_16x16x32_i8 v[192:195], a[16:17], v[132:133], v[192:195]// 000000006134: D3D700C0 0F030910
	v_mfma_i32_16x16x32_i8 v[192:195], a[18:19], v[134:135], v[192:195]// 00000000613C: D3D700C0 0F030D12
	buffer_load_dwordx4 a[144:147], v42, s[12:15], 0 offen     // 000000006144: E05C1000 8083902A
	v_mfma_i32_16x16x32_i8 v[196:199], a[16:17], v[164:165], v[196:199]// 00000000614C: D3D700C4 0F134910
	v_mfma_i32_16x16x32_i8 v[196:199], a[18:19], v[166:167], v[196:199]// 000000006154: D3D700C4 0F134D12
	v_mfma_i32_16x16x32_i8 v[200:203], a[20:21], v[132:133], v[200:203]// 00000000615C: D3D700C8 0F230914
	v_mfma_i32_16x16x32_i8 v[200:203], a[22:23], v[134:135], v[200:203]// 000000006164: D3D700C8 0F230D16
	buffer_load_dwordx4 a[148:151], v43, s[12:15], 0 offen     // 00000000616C: E05C1000 8083942B
	v_mfma_i32_16x16x32_i8 v[204:207], a[20:21], v[164:165], v[204:207]// 000000006174: D3D700CC 0F334914
	v_mfma_i32_16x16x32_i8 v[204:207], a[22:23], v[166:167], v[204:207]// 00000000617C: D3D700CC 0F334D16
	v_mfma_i32_16x16x32_i8 v[208:211], a[24:25], v[132:133], v[208:211]// 000000006184: D3D700D0 0F430918
	v_mfma_i32_16x16x32_i8 v[208:211], a[26:27], v[134:135], v[208:211]// 00000000618C: D3D700D0 0F430D1A
	buffer_load_dwordx4 a[152:155], v44, s[12:15], 0 offen     // 000000006194: E05C1000 8083982C
	v_mfma_i32_16x16x32_i8 v[212:215], a[24:25], v[164:165], v[212:215]// 00000000619C: D3D700D4 0F534918
	v_mfma_i32_16x16x32_i8 v[212:215], a[26:27], v[166:167], v[212:215]// 0000000061A4: D3D700D4 0F534D1A
	v_mfma_i32_16x16x32_i8 v[216:219], a[28:29], v[132:133], v[216:219]// 0000000061AC: D3D700D8 0F63091C
	v_mfma_i32_16x16x32_i8 v[216:219], a[30:31], v[134:135], v[216:219]// 0000000061B4: D3D700D8 0F630D1E
	buffer_load_dwordx4 a[156:159], v45, s[12:15], 0 offen     // 0000000061BC: E05C1000 80839C2D
	s_add_u32 s12, s78, s12                                    // 0000000061C4: 800C0C4E
	s_addc_u32 s13, 0, s13                                     // 0000000061C8: 820D0D80
	v_mfma_i32_16x16x32_i8 v[220:223], a[28:29], v[164:165], v[220:223]// 0000000061CC: D3D700DC 0F73491C
	v_mfma_i32_16x16x32_i8 v[220:223], a[30:31], v[166:167], v[220:223]// 0000000061D4: D3D700DC 0F734D1E
	s_waitcnt vmcnt(45)                                        // 0000000061DC: BF8C8F7D
	v_mfma_i32_16x16x32_i8 v[192:195], a[32:33], v[136:137], v[192:195]// 0000000061E0: D3D700C0 0F031120
	v_mfma_i32_16x16x32_i8 v[192:195], a[34:35], v[138:139], v[192:195]// 0000000061E8: D3D700C0 0F031522
	buffer_load_dwordx4 a[160:163], v42, s[12:15], 0 offen     // 0000000061F0: E05C1000 8083A02A
	v_mfma_i32_16x16x32_i8 v[196:199], a[32:33], v[168:169], v[196:199]// 0000000061F8: D3D700C4 0F135120
	v_mfma_i32_16x16x32_i8 v[196:199], a[34:35], v[170:171], v[196:199]// 000000006200: D3D700C4 0F135522
	v_mfma_i32_16x16x32_i8 v[200:203], a[36:37], v[136:137], v[200:203]// 000000006208: D3D700C8 0F231124
	v_mfma_i32_16x16x32_i8 v[200:203], a[38:39], v[138:139], v[200:203]// 000000006210: D3D700C8 0F231526
	buffer_load_dwordx4 a[164:167], v43, s[12:15], 0 offen     // 000000006218: E05C1000 8083A42B
	v_mfma_i32_16x16x32_i8 v[204:207], a[36:37], v[168:169], v[204:207]// 000000006220: D3D700CC 0F335124
	v_mfma_i32_16x16x32_i8 v[204:207], a[38:39], v[170:171], v[204:207]// 000000006228: D3D700CC 0F335526
	v_mfma_i32_16x16x32_i8 v[208:211], a[40:41], v[136:137], v[208:211]// 000000006230: D3D700D0 0F431128
	v_mfma_i32_16x16x32_i8 v[208:211], a[42:43], v[138:139], v[208:211]// 000000006238: D3D700D0 0F43152A
	buffer_load_dwordx4 a[168:171], v44, s[12:15], 0 offen     // 000000006240: E05C1000 8083A82C
	v_mfma_i32_16x16x32_i8 v[212:215], a[40:41], v[168:169], v[212:215]// 000000006248: D3D700D4 0F535128
	v_mfma_i32_16x16x32_i8 v[212:215], a[42:43], v[170:171], v[212:215]// 000000006250: D3D700D4 0F53552A
	v_mfma_i32_16x16x32_i8 v[216:219], a[44:45], v[136:137], v[216:219]// 000000006258: D3D700D8 0F63112C
	v_mfma_i32_16x16x32_i8 v[216:219], a[46:47], v[138:139], v[216:219]// 000000006260: D3D700D8 0F63152E
	buffer_load_dwordx4 a[172:175], v45, s[12:15], 0 offen     // 000000006268: E05C1000 8083AC2D
	s_add_u32 s12, s78, s12                                    // 000000006270: 800C0C4E
	s_addc_u32 s13, 0, s13                                     // 000000006274: 820D0D80
	v_mfma_i32_16x16x32_i8 v[220:223], a[44:45], v[168:169], v[220:223]// 000000006278: D3D700DC 0F73512C
	v_mfma_i32_16x16x32_i8 v[220:223], a[46:47], v[170:171], v[220:223]// 000000006280: D3D700DC 0F73552E
	s_waitcnt vmcnt(45)                                        // 000000006288: BF8C8F7D
	v_mfma_i32_16x16x32_i8 v[192:195], a[48:49], v[140:141], v[192:195]// 00000000628C: D3D700C0 0F031930
	v_mfma_i32_16x16x32_i8 v[192:195], a[50:51], v[142:143], v[192:195]// 000000006294: D3D700C0 0F031D32
	buffer_load_dwordx4 a[176:179], v42, s[12:15], 0 offen     // 00000000629C: E05C1000 8083B02A
	v_mfma_i32_16x16x32_i8 v[196:199], a[48:49], v[172:173], v[196:199]// 0000000062A4: D3D700C4 0F135930
	v_mfma_i32_16x16x32_i8 v[196:199], a[50:51], v[174:175], v[196:199]// 0000000062AC: D3D700C4 0F135D32
	v_mfma_i32_16x16x32_i8 v[200:203], a[52:53], v[140:141], v[200:203]// 0000000062B4: D3D700C8 0F231934
	v_mfma_i32_16x16x32_i8 v[200:203], a[54:55], v[142:143], v[200:203]// 0000000062BC: D3D700C8 0F231D36
	buffer_load_dwordx4 a[180:183], v43, s[12:15], 0 offen     // 0000000062C4: E05C1000 8083B42B
	v_mfma_i32_16x16x32_i8 v[204:207], a[52:53], v[172:173], v[204:207]// 0000000062CC: D3D700CC 0F335934
	v_mfma_i32_16x16x32_i8 v[204:207], a[54:55], v[174:175], v[204:207]// 0000000062D4: D3D700CC 0F335D36
	v_mfma_i32_16x16x32_i8 v[208:211], a[56:57], v[140:141], v[208:211]// 0000000062DC: D3D700D0 0F431938
	v_mfma_i32_16x16x32_i8 v[208:211], a[58:59], v[142:143], v[208:211]// 0000000062E4: D3D700D0 0F431D3A
	buffer_load_dwordx4 a[184:187], v44, s[12:15], 0 offen     // 0000000062EC: E05C1000 8083B82C
	v_mfma_i32_16x16x32_i8 v[212:215], a[56:57], v[172:173], v[212:215]// 0000000062F4: D3D700D4 0F535938
	v_mfma_i32_16x16x32_i8 v[212:215], a[58:59], v[174:175], v[212:215]// 0000000062FC: D3D700D4 0F535D3A
	v_mfma_i32_16x16x32_i8 v[216:219], a[60:61], v[140:141], v[216:219]// 000000006304: D3D700D8 0F63193C
	v_mfma_i32_16x16x32_i8 v[216:219], a[62:63], v[142:143], v[216:219]// 00000000630C: D3D700D8 0F631D3E
	buffer_load_dwordx4 a[188:191], v45, s[12:15], 0 offen     // 000000006314: E05C1000 8083BC2D
	s_add_u32 s12, s78, s12                                    // 00000000631C: 800C0C4E
	s_addc_u32 s13, 0, s13                                     // 000000006320: 820D0D80
	v_mfma_i32_16x16x32_i8 v[220:223], a[60:61], v[172:173], v[220:223]// 000000006324: D3D700DC 0F73593C
	v_mfma_i32_16x16x32_i8 v[220:223], a[62:63], v[174:175], v[220:223]// 00000000632C: D3D700DC 0F735D3E
	s_waitcnt vmcnt(45)                                        // 000000006334: BF8C8F7D
	v_mfma_i32_16x16x32_i8 v[192:195], a[64:65], v[144:145], v[192:195]// 000000006338: D3D700C0 0F032140
	v_mfma_i32_16x16x32_i8 v[192:195], a[66:67], v[146:147], v[192:195]// 000000006340: D3D700C0 0F032542
	buffer_load_dwordx4 a[192:195], v42, s[12:15], 0 offen     // 000000006348: E05C1000 8083C02A
	v_mfma_i32_16x16x32_i8 v[196:199], a[64:65], v[176:177], v[196:199]// 000000006350: D3D700C4 0F136140
	v_mfma_i32_16x16x32_i8 v[196:199], a[66:67], v[178:179], v[196:199]// 000000006358: D3D700C4 0F136542
	v_mfma_i32_16x16x32_i8 v[200:203], a[68:69], v[144:145], v[200:203]// 000000006360: D3D700C8 0F232144
	v_mfma_i32_16x16x32_i8 v[200:203], a[70:71], v[146:147], v[200:203]// 000000006368: D3D700C8 0F232546
	buffer_load_dwordx4 a[196:199], v43, s[12:15], 0 offen     // 000000006370: E05C1000 8083C42B
	v_mfma_i32_16x16x32_i8 v[204:207], a[68:69], v[176:177], v[204:207]// 000000006378: D3D700CC 0F336144
	v_mfma_i32_16x16x32_i8 v[204:207], a[70:71], v[178:179], v[204:207]// 000000006380: D3D700CC 0F336546
	v_mfma_i32_16x16x32_i8 v[208:211], a[72:73], v[144:145], v[208:211]// 000000006388: D3D700D0 0F432148
	v_mfma_i32_16x16x32_i8 v[208:211], a[74:75], v[146:147], v[208:211]// 000000006390: D3D700D0 0F43254A
	buffer_load_dwordx4 a[200:203], v44, s[12:15], 0 offen     // 000000006398: E05C1000 8083C82C
	v_mfma_i32_16x16x32_i8 v[212:215], a[72:73], v[176:177], v[212:215]// 0000000063A0: D3D700D4 0F536148
	v_mfma_i32_16x16x32_i8 v[212:215], a[74:75], v[178:179], v[212:215]// 0000000063A8: D3D700D4 0F53654A
	v_mfma_i32_16x16x32_i8 v[216:219], a[76:77], v[144:145], v[216:219]// 0000000063B0: D3D700D8 0F63214C
	v_mfma_i32_16x16x32_i8 v[216:219], a[78:79], v[146:147], v[216:219]// 0000000063B8: D3D700D8 0F63254E
	buffer_load_dwordx4 a[204:207], v45, s[12:15], 0 offen     // 0000000063C0: E05C1000 8083CC2D
	s_add_u32 s12, s78, s12                                    // 0000000063C8: 800C0C4E
	s_addc_u32 s13, 0, s13                                     // 0000000063CC: 820D0D80
	v_mfma_i32_16x16x32_i8 v[220:223], a[76:77], v[176:177], v[220:223]// 0000000063D0: D3D700DC 0F73614C
	v_mfma_i32_16x16x32_i8 v[220:223], a[78:79], v[178:179], v[220:223]// 0000000063D8: D3D700DC 0F73654E
	s_waitcnt vmcnt(45)                                        // 0000000063E0: BF8C8F7D
	v_mfma_i32_16x16x32_i8 v[192:195], a[80:81], v[148:149], v[192:195]// 0000000063E4: D3D700C0 0F032950
	v_mfma_i32_16x16x32_i8 v[192:195], a[82:83], v[150:151], v[192:195]// 0000000063EC: D3D700C0 0F032D52
	buffer_load_dwordx4 a[208:211], v42, s[12:15], 0 offen     // 0000000063F4: E05C1000 8083D02A
	v_mfma_i32_16x16x32_i8 v[196:199], a[80:81], v[180:181], v[196:199]// 0000000063FC: D3D700C4 0F136950
	v_mfma_i32_16x16x32_i8 v[196:199], a[82:83], v[182:183], v[196:199]// 000000006404: D3D700C4 0F136D52
	v_mfma_i32_16x16x32_i8 v[200:203], a[84:85], v[148:149], v[200:203]// 00000000640C: D3D700C8 0F232954
	v_mfma_i32_16x16x32_i8 v[200:203], a[86:87], v[150:151], v[200:203]// 000000006414: D3D700C8 0F232D56
	buffer_load_dwordx4 a[212:215], v43, s[12:15], 0 offen     // 00000000641C: E05C1000 8083D42B
	v_mfma_i32_16x16x32_i8 v[204:207], a[84:85], v[180:181], v[204:207]// 000000006424: D3D700CC 0F336954
	v_mfma_i32_16x16x32_i8 v[204:207], a[86:87], v[182:183], v[204:207]// 00000000642C: D3D700CC 0F336D56
	v_mfma_i32_16x16x32_i8 v[208:211], a[88:89], v[148:149], v[208:211]// 000000006434: D3D700D0 0F432958
	v_mfma_i32_16x16x32_i8 v[208:211], a[90:91], v[150:151], v[208:211]// 00000000643C: D3D700D0 0F432D5A
	buffer_load_dwordx4 a[216:219], v44, s[12:15], 0 offen     // 000000006444: E05C1000 8083D82C
	v_mfma_i32_16x16x32_i8 v[212:215], a[88:89], v[180:181], v[212:215]// 00000000644C: D3D700D4 0F536958
	v_mfma_i32_16x16x32_i8 v[212:215], a[90:91], v[182:183], v[212:215]// 000000006454: D3D700D4 0F536D5A
	v_mfma_i32_16x16x32_i8 v[216:219], a[92:93], v[148:149], v[216:219]// 00000000645C: D3D700D8 0F63295C
	v_mfma_i32_16x16x32_i8 v[216:219], a[94:95], v[150:151], v[216:219]// 000000006464: D3D700D8 0F632D5E
	buffer_load_dwordx4 a[220:223], v45, s[12:15], 0 offen     // 00000000646C: E05C1000 8083DC2D
	s_add_u32 s12, s78, s12                                    // 000000006474: 800C0C4E
	s_addc_u32 s13, 0, s13                                     // 000000006478: 820D0D80
	v_mfma_i32_16x16x32_i8 v[220:223], a[92:93], v[180:181], v[220:223]// 00000000647C: D3D700DC 0F73695C
	v_mfma_i32_16x16x32_i8 v[220:223], a[94:95], v[182:183], v[220:223]// 000000006484: D3D700DC 0F736D5E
	s_waitcnt vmcnt(45)                                        // 00000000648C: BF8C8F7D
	v_mfma_i32_16x16x32_i8 v[192:195], a[96:97], v[152:153], v[192:195]// 000000006490: D3D700C0 0F033160
	v_mfma_i32_16x16x32_i8 v[192:195], a[98:99], v[154:155], v[192:195]// 000000006498: D3D700C0 0F033562
	buffer_load_dwordx4 a[224:227], v42, s[12:15], 0 offen     // 0000000064A0: E05C1000 8083E02A
	v_mfma_i32_16x16x32_i8 v[196:199], a[96:97], v[184:185], v[196:199]// 0000000064A8: D3D700C4 0F137160
	v_mfma_i32_16x16x32_i8 v[196:199], a[98:99], v[186:187], v[196:199]// 0000000064B0: D3D700C4 0F137562
	v_mfma_i32_16x16x32_i8 v[200:203], a[100:101], v[152:153], v[200:203]// 0000000064B8: D3D700C8 0F233164
	v_mfma_i32_16x16x32_i8 v[200:203], a[102:103], v[154:155], v[200:203]// 0000000064C0: D3D700C8 0F233566
	buffer_load_dwordx4 a[228:231], v43, s[12:15], 0 offen     // 0000000064C8: E05C1000 8083E42B
	v_mfma_i32_16x16x32_i8 v[204:207], a[100:101], v[184:185], v[204:207]// 0000000064D0: D3D700CC 0F337164
	v_mfma_i32_16x16x32_i8 v[204:207], a[102:103], v[186:187], v[204:207]// 0000000064D8: D3D700CC 0F337566
	v_mfma_i32_16x16x32_i8 v[208:211], a[104:105], v[152:153], v[208:211]// 0000000064E0: D3D700D0 0F433168
	v_mfma_i32_16x16x32_i8 v[208:211], a[106:107], v[154:155], v[208:211]// 0000000064E8: D3D700D0 0F43356A
	buffer_load_dwordx4 a[232:235], v44, s[12:15], 0 offen     // 0000000064F0: E05C1000 8083E82C
	v_mfma_i32_16x16x32_i8 v[212:215], a[104:105], v[184:185], v[212:215]// 0000000064F8: D3D700D4 0F537168
	v_mfma_i32_16x16x32_i8 v[212:215], a[106:107], v[186:187], v[212:215]// 000000006500: D3D700D4 0F53756A
	v_mfma_i32_16x16x32_i8 v[216:219], a[108:109], v[152:153], v[216:219]// 000000006508: D3D700D8 0F63316C
	v_mfma_i32_16x16x32_i8 v[216:219], a[110:111], v[154:155], v[216:219]// 000000006510: D3D700D8 0F63356E
	buffer_load_dwordx4 a[236:239], v45, s[12:15], 0 offen     // 000000006518: E05C1000 8083EC2D
	s_add_u32 s12, s78, s12                                    // 000000006520: 800C0C4E
	s_addc_u32 s13, 0, s13                                     // 000000006524: 820D0D80
	v_mfma_i32_16x16x32_i8 v[220:223], a[108:109], v[184:185], v[220:223]// 000000006528: D3D700DC 0F73716C
	v_mfma_i32_16x16x32_i8 v[220:223], a[110:111], v[186:187], v[220:223]// 000000006530: D3D700DC 0F73756E
	s_waitcnt vmcnt(44)                                        // 000000006538: BF8C8F7C
	v_mfma_i32_16x16x32_i8 v[192:195], a[112:113], v[156:157], v[192:195]// 00000000653C: D3D700C0 0F033970
	v_mfma_i32_16x16x32_i8 v[192:195], a[114:115], v[158:159], v[192:195]// 000000006544: D3D700C0 0F033D72
	buffer_load_dwordx4 a[240:243], v42, s[12:15], 0 offen     // 00000000654C: E05C1000 8083F02A
	v_mfma_i32_16x16x32_i8 v[196:199], a[112:113], v[188:189], v[196:199]// 000000006554: D3D700C4 0F137970
	v_mfma_i32_16x16x32_i8 v[196:199], a[114:115], v[190:191], v[196:199]// 00000000655C: D3D700C4 0F137D72
	buffer_load_dword v13, v5, s[16:19], 0 offen               // 000000006564: E0501000 80040D05
	v_mfma_i32_16x16x32_i8 v[200:203], a[116:117], v[156:157], v[200:203]// 00000000656C: D3D700C8 0F233974
	v_mfma_i32_16x16x32_i8 v[200:203], a[118:119], v[158:159], v[200:203]// 000000006574: D3D700C8 0F233D76
	buffer_load_dwordx4 a[244:247], v43, s[12:15], 0 offen     // 00000000657C: E05C1000 8083F42B
	v_mfma_i32_16x16x32_i8 v[204:207], a[116:117], v[188:189], v[204:207]// 000000006584: D3D700CC 0F337974
	v_mfma_i32_16x16x32_i8 v[204:207], a[118:119], v[190:191], v[204:207]// 00000000658C: D3D700CC 0F337D76
	v_mfma_i32_16x16x32_i8 v[208:211], a[120:121], v[156:157], v[208:211]// 000000006594: D3D700D0 0F433978
	v_mfma_i32_16x16x32_i8 v[208:211], a[122:123], v[158:159], v[208:211]// 00000000659C: D3D700D0 0F433D7A
	buffer_load_dwordx4 a[248:251], v44, s[12:15], 0 offen     // 0000000065A4: E05C1000 8083F82C
	v_mfma_i32_16x16x32_i8 v[212:215], a[120:121], v[188:189], v[212:215]// 0000000065AC: D3D700D4 0F537978
	v_mfma_i32_16x16x32_i8 v[212:215], a[122:123], v[190:191], v[212:215]// 0000000065B4: D3D700D4 0F537D7A
	v_mfma_i32_16x16x32_i8 v[216:219], a[124:125], v[156:157], v[216:219]// 0000000065BC: D3D700D8 0F63397C
	v_mfma_i32_16x16x32_i8 v[216:219], a[126:127], v[158:159], v[216:219]// 0000000065C4: D3D700D8 0F633D7E
	buffer_load_dwordx4 a[252:255], v45, s[12:15], 0 offen     // 0000000065CC: E05C1000 8083FC2D
	v_mfma_i32_16x16x32_i8 v[220:223], a[124:125], v[188:189], v[220:223]// 0000000065D4: D3D700DC 0F73797C
	v_mfma_i32_16x16x32_i8 v[220:223], a[126:127], v[190:191], v[220:223]// 0000000065DC: D3D700DC 0F737D7E
	s_add_u32 s60, 0x200, s80                                  // 0000000065E4: 803C50FF 00000200
	s_cmp_lt_u32 s60, s81                                      // 0000000065EC: BF0A513C
	s_cselect_b32 s56, s56, 0                                  // 0000000065F0: 85388038
	s_cselect_b32 s78, s78, 0                                  // 0000000065F4: 854E804E
	s_cselect_b32 s79, s79, 0                                  // 0000000065F8: 854F804F
	s_add_u32 s12, s56, s12                                    // 0000000065FC: 800C0C38
	s_addc_u32 s13, 0, s13                                     // 000000006600: 820D0D80
	s_add_u32 s16, s79, s16                                    // 000000006604: 8010104F
	s_addc_u32 s17, 0, s17                                     // 000000006608: 82111180
	v_cvt_f32_i32_e32 v192, v192                               // 00000000660C: 7F800BC0
	v_cvt_f32_i32_e32 v193, v193                               // 000000006610: 7F820BC1
	v_cvt_f32_i32_e32 v194, v194                               // 000000006614: 7F840BC2
	v_cvt_f32_i32_e32 v195, v195                               // 000000006618: 7F860BC3
	v_mul_f32_e32 v192, v24, v192                              // 00000000661C: 0B818118
	v_mul_f32_e32 v193, v24, v193                              // 000000006620: 0B838318
	v_mul_f32_e32 v194, v24, v194                              // 000000006624: 0B858518
	v_mul_f32_e32 v195, v24, v195                              // 000000006628: 0B878718
	v_mul_f32_dpp v192, v12, v192 row_newbcast:0 row_mask:0xf bank_mask:0xf// 00000000662C: 0B8180FA FF01500C
	v_mul_f32_dpp v193, v12, v193 row_newbcast:1 row_mask:0xf bank_mask:0xf// 000000006634: 0B8382FA FF01510C
	v_mul_f32_dpp v194, v12, v194 row_newbcast:2 row_mask:0xf bank_mask:0xf// 00000000663C: 0B8584FA FF01520C
	v_mul_f32_dpp v195, v12, v195 row_newbcast:3 row_mask:0xf bank_mask:0xf// 000000006644: 0B8786FA FF01530C
	v_mul_f32_e32 v192, v20, v192                              // 00000000664C: 0B818114
	v_mul_f32_e32 v193, v20, v193                              // 000000006650: 0B838314
	v_mul_f32_e32 v194, v20, v194                              // 000000006654: 0B858514
	v_mul_f32_e32 v195, v20, v195                              // 000000006658: 0B878714
	v_cvt_f32_i32_e32 v196, v196                               // 00000000665C: 7F880BC4
	v_cvt_f32_i32_e32 v197, v197                               // 000000006660: 7F8A0BC5
	v_cvt_f32_i32_e32 v198, v198                               // 000000006664: 7F8C0BC6
	v_cvt_f32_i32_e32 v199, v199                               // 000000006668: 7F8E0BC7
	v_mul_f32_e32 v196, v25, v196                              // 00000000666C: 0B898919
	v_mul_f32_e32 v197, v25, v197                              // 000000006670: 0B8B8B19
	v_mul_f32_e32 v198, v25, v198                              // 000000006674: 0B8D8D19
	v_mul_f32_e32 v199, v25, v199                              // 000000006678: 0B8F8F19
	v_mul_f32_dpp v196, v12, v196 row_newbcast:0 row_mask:0xf bank_mask:0xf// 00000000667C: 0B8988FA FF01500C
	v_mul_f32_dpp v197, v12, v197 row_newbcast:1 row_mask:0xf bank_mask:0xf// 000000006684: 0B8B8AFA FF01510C
	v_mul_f32_dpp v198, v12, v198 row_newbcast:2 row_mask:0xf bank_mask:0xf// 00000000668C: 0B8D8CFA FF01520C
	v_mul_f32_dpp v199, v12, v199 row_newbcast:3 row_mask:0xf bank_mask:0xf// 000000006694: 0B8F8EFA FF01530C
	v_mul_f32_e32 v196, v21, v196                              // 00000000669C: 0B898915
	v_mul_f32_e32 v197, v21, v197                              // 0000000066A0: 0B8B8B15
	v_mul_f32_e32 v198, v21, v198                              // 0000000066A4: 0B8D8D15
	v_mul_f32_e32 v199, v21, v199                              // 0000000066A8: 0B8F8F15
	v_cvt_f32_i32_e32 v200, v200                               // 0000000066AC: 7F900BC8
	v_cvt_f32_i32_e32 v201, v201                               // 0000000066B0: 7F920BC9
	v_cvt_f32_i32_e32 v202, v202                               // 0000000066B4: 7F940BCA
	v_cvt_f32_i32_e32 v203, v203                               // 0000000066B8: 7F960BCB
	v_mul_f32_e32 v200, v24, v200                              // 0000000066BC: 0B919118
	v_mul_f32_e32 v201, v24, v201                              // 0000000066C0: 0B939318
	v_mul_f32_e32 v202, v24, v202                              // 0000000066C4: 0B959518
	v_mul_f32_e32 v203, v24, v203                              // 0000000066C8: 0B979718
	v_mul_f32_dpp v200, v12, v200 row_newbcast:4 row_mask:0xf bank_mask:0xf// 0000000066CC: 0B9190FA FF01540C
	v_mul_f32_dpp v201, v12, v201 row_newbcast:5 row_mask:0xf bank_mask:0xf// 0000000066D4: 0B9392FA FF01550C
	v_mul_f32_dpp v202, v12, v202 row_newbcast:6 row_mask:0xf bank_mask:0xf// 0000000066DC: 0B9594FA FF01560C
	v_mul_f32_dpp v203, v12, v203 row_newbcast:7 row_mask:0xf bank_mask:0xf// 0000000066E4: 0B9796FA FF01570C
	v_mul_f32_e32 v200, v20, v200                              // 0000000066EC: 0B919114
	v_mul_f32_e32 v201, v20, v201                              // 0000000066F0: 0B939314
	v_mul_f32_e32 v202, v20, v202                              // 0000000066F4: 0B959514
	v_mul_f32_e32 v203, v20, v203                              // 0000000066F8: 0B979714
	v_cvt_f32_i32_e32 v204, v204                               // 0000000066FC: 7F980BCC
	v_cvt_f32_i32_e32 v205, v205                               // 000000006700: 7F9A0BCD
	v_cvt_f32_i32_e32 v206, v206                               // 000000006704: 7F9C0BCE
	v_cvt_f32_i32_e32 v207, v207                               // 000000006708: 7F9E0BCF
	v_mul_f32_e32 v204, v25, v204                              // 00000000670C: 0B999919
	v_mul_f32_e32 v205, v25, v205                              // 000000006710: 0B9B9B19
	v_mul_f32_e32 v206, v25, v206                              // 000000006714: 0B9D9D19
	v_mul_f32_e32 v207, v25, v207                              // 000000006718: 0B9F9F19
	v_mul_f32_dpp v204, v12, v204 row_newbcast:4 row_mask:0xf bank_mask:0xf// 00000000671C: 0B9998FA FF01540C
	v_mul_f32_dpp v205, v12, v205 row_newbcast:5 row_mask:0xf bank_mask:0xf// 000000006724: 0B9B9AFA FF01550C
	v_mul_f32_dpp v206, v12, v206 row_newbcast:6 row_mask:0xf bank_mask:0xf// 00000000672C: 0B9D9CFA FF01560C
	v_mul_f32_dpp v207, v12, v207 row_newbcast:7 row_mask:0xf bank_mask:0xf// 000000006734: 0B9F9EFA FF01570C
	v_mul_f32_e32 v204, v21, v204                              // 00000000673C: 0B999915
	v_mul_f32_e32 v205, v21, v205                              // 000000006740: 0B9B9B15
	v_mul_f32_e32 v206, v21, v206                              // 000000006744: 0B9D9D15
	v_mul_f32_e32 v207, v21, v207                              // 000000006748: 0B9F9F15
	v_cvt_f32_i32_e32 v208, v208                               // 00000000674C: 7FA00BD0
	v_cvt_f32_i32_e32 v209, v209                               // 000000006750: 7FA20BD1
	v_cvt_f32_i32_e32 v210, v210                               // 000000006754: 7FA40BD2
	v_cvt_f32_i32_e32 v211, v211                               // 000000006758: 7FA60BD3
	v_mul_f32_e32 v208, v24, v208                              // 00000000675C: 0BA1A118
	v_mul_f32_e32 v209, v24, v209                              // 000000006760: 0BA3A318
	v_mul_f32_e32 v210, v24, v210                              // 000000006764: 0BA5A518
	v_mul_f32_e32 v211, v24, v211                              // 000000006768: 0BA7A718
	v_mul_f32_dpp v208, v12, v208 row_newbcast:8 row_mask:0xf bank_mask:0xf// 00000000676C: 0BA1A0FA FF01580C
	v_mul_f32_dpp v209, v12, v209 row_newbcast:9 row_mask:0xf bank_mask:0xf// 000000006774: 0BA3A2FA FF01590C
	v_mul_f32_dpp v210, v12, v210 row_newbcast:10 row_mask:0xf bank_mask:0xf// 00000000677C: 0BA5A4FA FF015A0C
	v_mul_f32_dpp v211, v12, v211 row_newbcast:11 row_mask:0xf bank_mask:0xf// 000000006784: 0BA7A6FA FF015B0C
	v_mul_f32_e32 v208, v20, v208                              // 00000000678C: 0BA1A114
	v_mul_f32_e32 v209, v20, v209                              // 000000006790: 0BA3A314
	v_mul_f32_e32 v210, v20, v210                              // 000000006794: 0BA5A514
	v_mul_f32_e32 v211, v20, v211                              // 000000006798: 0BA7A714
	v_cvt_f32_i32_e32 v212, v212                               // 00000000679C: 7FA80BD4
	v_cvt_f32_i32_e32 v213, v213                               // 0000000067A0: 7FAA0BD5
	v_cvt_f32_i32_e32 v214, v214                               // 0000000067A4: 7FAC0BD6
	v_cvt_f32_i32_e32 v215, v215                               // 0000000067A8: 7FAE0BD7
	v_mul_f32_e32 v212, v25, v212                              // 0000000067AC: 0BA9A919
	v_mul_f32_e32 v213, v25, v213                              // 0000000067B0: 0BABAB19
	v_mul_f32_e32 v214, v25, v214                              // 0000000067B4: 0BADAD19
	v_mul_f32_e32 v215, v25, v215                              // 0000000067B8: 0BAFAF19
	v_mul_f32_dpp v212, v12, v212 row_newbcast:8 row_mask:0xf bank_mask:0xf// 0000000067BC: 0BA9A8FA FF01580C
	v_mul_f32_dpp v213, v12, v213 row_newbcast:9 row_mask:0xf bank_mask:0xf// 0000000067C4: 0BABAAFA FF01590C
	v_mul_f32_dpp v214, v12, v214 row_newbcast:10 row_mask:0xf bank_mask:0xf// 0000000067CC: 0BADACFA FF015A0C
	v_mul_f32_dpp v215, v12, v215 row_newbcast:11 row_mask:0xf bank_mask:0xf// 0000000067D4: 0BAFAEFA FF015B0C
	v_mul_f32_e32 v212, v21, v212                              // 0000000067DC: 0BA9A915
	v_mul_f32_e32 v213, v21, v213                              // 0000000067E0: 0BABAB15
	v_mul_f32_e32 v214, v21, v214                              // 0000000067E4: 0BADAD15
	v_mul_f32_e32 v215, v21, v215                              // 0000000067E8: 0BAFAF15
	v_cvt_f32_i32_e32 v216, v216                               // 0000000067EC: 7FB00BD8
	v_cvt_f32_i32_e32 v217, v217                               // 0000000067F0: 7FB20BD9
	v_cvt_f32_i32_e32 v218, v218                               // 0000000067F4: 7FB40BDA
	v_cvt_f32_i32_e32 v219, v219                               // 0000000067F8: 7FB60BDB
	v_mul_f32_e32 v216, v24, v216                              // 0000000067FC: 0BB1B118
	v_mul_f32_e32 v217, v24, v217                              // 000000006800: 0BB3B318
	v_mul_f32_e32 v218, v24, v218                              // 000000006804: 0BB5B518
	v_mul_f32_e32 v219, v24, v219                              // 000000006808: 0BB7B718
	v_mul_f32_dpp v216, v12, v216 row_newbcast:12 row_mask:0xf bank_mask:0xf// 00000000680C: 0BB1B0FA FF015C0C
	v_mul_f32_dpp v217, v12, v217 row_newbcast:13 row_mask:0xf bank_mask:0xf// 000000006814: 0BB3B2FA FF015D0C
	v_mul_f32_dpp v218, v12, v218 row_newbcast:14 row_mask:0xf bank_mask:0xf// 00000000681C: 0BB5B4FA FF015E0C
	v_mul_f32_dpp v219, v12, v219 row_newbcast:15 row_mask:0xf bank_mask:0xf// 000000006824: 0BB7B6FA FF015F0C
	v_mul_f32_e32 v216, v20, v216                              // 00000000682C: 0BB1B114
	v_mul_f32_e32 v217, v20, v217                              // 000000006830: 0BB3B314
	v_mul_f32_e32 v218, v20, v218                              // 000000006834: 0BB5B514
	v_mul_f32_e32 v219, v20, v219                              // 000000006838: 0BB7B714
	v_cvt_f32_i32_e32 v220, v220                               // 00000000683C: 7FB80BDC
	v_cvt_f32_i32_e32 v221, v221                               // 000000006840: 7FBA0BDD
	v_cvt_f32_i32_e32 v222, v222                               // 000000006844: 7FBC0BDE
	v_cvt_f32_i32_e32 v223, v223                               // 000000006848: 7FBE0BDF
	v_mul_f32_e32 v220, v25, v220                              // 00000000684C: 0BB9B919
	v_mul_f32_e32 v221, v25, v221                              // 000000006850: 0BBBBB19
	v_mul_f32_e32 v222, v25, v222                              // 000000006854: 0BBDBD19
	v_mul_f32_e32 v223, v25, v223                              // 000000006858: 0BBFBF19
	v_mul_f32_dpp v220, v12, v220 row_newbcast:12 row_mask:0xf bank_mask:0xf// 00000000685C: 0BB9B8FA FF015C0C
	v_mul_f32_dpp v221, v12, v221 row_newbcast:13 row_mask:0xf bank_mask:0xf// 000000006864: 0BBBBAFA FF015D0C
	v_mul_f32_dpp v222, v12, v222 row_newbcast:14 row_mask:0xf bank_mask:0xf// 00000000686C: 0BBDBCFA FF015E0C
	v_mul_f32_dpp v223, v12, v223 row_newbcast:15 row_mask:0xf bank_mask:0xf// 000000006874: 0BBFBEFA FF015F0C
	v_mul_f32_e32 v220, v21, v220                              // 00000000687C: 0BB9B915
	v_mul_f32_e32 v221, v21, v221                              // 000000006880: 0BBBBB15
	v_mul_f32_e32 v222, v21, v222                              // 000000006884: 0BBDBD15
	v_mul_f32_e32 v223, v21, v223                              // 000000006888: 0BBFBF15
	v_cvt_pkrtz_f16_f32 v192, v192, v193                       // 00000000688C: D29600C0 000383C0
	v_cvt_pkrtz_f16_f32 v193, v194, v195                       // 000000006894: D29600C1 000387C2
	v_cvt_pkrtz_f16_f32 v194, v196, v197                       // 00000000689C: D29600C2 00038BC4
	v_cvt_pkrtz_f16_f32 v195, v198, v199                       // 0000000068A4: D29600C3 00038FC6
	v_cvt_pkrtz_f16_f32 v196, v200, v201                       // 0000000068AC: D29600C4 000393C8
	v_cvt_pkrtz_f16_f32 v197, v202, v203                       // 0000000068B4: D29600C5 000397CA
	v_cvt_pkrtz_f16_f32 v198, v204, v205                       // 0000000068BC: D29600C6 00039BCC
	v_cvt_pkrtz_f16_f32 v199, v206, v207                       // 0000000068C4: D29600C7 00039FCE
	v_cvt_pkrtz_f16_f32 v200, v208, v209                       // 0000000068CC: D29600C8 0003A3D0
	v_cvt_pkrtz_f16_f32 v201, v210, v211                       // 0000000068D4: D29600C9 0003A7D2
	v_cvt_pkrtz_f16_f32 v202, v212, v213                       // 0000000068DC: D29600CA 0003ABD4
	v_cvt_pkrtz_f16_f32 v203, v214, v215                       // 0000000068E4: D29600CB 0003AFD6
	v_cvt_pkrtz_f16_f32 v204, v216, v217                       // 0000000068EC: D29600CC 0003B3D8
	v_cvt_pkrtz_f16_f32 v205, v218, v219                       // 0000000068F4: D29600CD 0003B7DA
	v_cvt_pkrtz_f16_f32 v206, v220, v221                       // 0000000068FC: D29600CE 0003BBDC
	v_cvt_pkrtz_f16_f32 v207, v222, v223                       // 000000006904: D29600CF 0003BFDE
	ds_write_b64 v3, v[192:193] offset:35072                   // 00000000690C: D89A8900 0000C003
	ds_write_b64 v3, v[194:195] offset:43776                   // 000000006914: D89AAB00 0000C203
	ds_write_b64 v3, v[196:197] offset:37248                   // 00000000691C: D89A9180 0000C403
	ds_write_b64 v3, v[198:199] offset:45952                   // 000000006924: D89AB380 0000C603
	ds_write_b64 v3, v[200:201] offset:39424                   // 00000000692C: D89A9A00 0000C803
	ds_write_b64 v3, v[202:203] offset:48128                   // 000000006934: D89ABC00 0000CA03
	ds_write_b64 v3, v[204:205] offset:41600                   // 00000000693C: D89AA280 0000CC03
	ds_write_b64 v3, v[206:207] offset:50304                   // 000000006944: D89AC480 0000CE03
	s_waitcnt lgkmcnt(0)                                       // 00000000694C: BF8CC07F
	s_barrier                                                  // 000000006950: BF8A0000
	ds_read_b32 v64, v4 offset:35072                           // 000000006954: D86C8900 40000004
	ds_read_b32 v65, v4 offset:39424                           // 00000000695C: D86C9A00 41000004
	ds_read_b32 v66, v4 offset:35104                           // 000000006964: D86C8920 42000004
	ds_read_b32 v67, v4 offset:39456                           // 00000000696C: D86C9A20 43000004
	ds_read_b32 v68, v4 offset:35136                           // 000000006974: D86C8940 44000004
	ds_read_b32 v69, v4 offset:39488                           // 00000000697C: D86C9A40 45000004
	ds_read_b32 v70, v4 offset:35168                           // 000000006984: D86C8960 46000004
	ds_read_b32 v71, v4 offset:39520                           // 00000000698C: D86C9A60 47000004
	ds_read_b32 v72, v4 offset:43776                           // 000000006994: D86CAB00 48000004
	ds_read_b32 v73, v4 offset:48128                           // 00000000699C: D86CBC00 49000004
	ds_read_b32 v74, v4 offset:43808                           // 0000000069A4: D86CAB20 4A000004
	ds_read_b32 v75, v4 offset:48160                           // 0000000069AC: D86CBC20 4B000004
	ds_read_b32 v76, v4 offset:43840                           // 0000000069B4: D86CAB40 4C000004
	ds_read_b32 v77, v4 offset:48192                           // 0000000069BC: D86CBC40 4D000004
	ds_read_b32 v78, v4 offset:43872                           // 0000000069C4: D86CAB60 4E000004
	ds_read_b32 v79, v4 offset:48224                           // 0000000069CC: D86CBC60 4F000004
	s_waitcnt lgkmcnt(0)                                       // 0000000069D4: BF8CC07F
	s_mov_b64 exec, s[20:21]                                   // 0000000069D8: BEFE0114
	global_atomic_pk_add_f16 v80, v64, s[8:9]                  // 0000000069DC: DD388000 00084050
	s_mov_b64 exec, s[36:37]                                   // 0000000069E4: BEFE0124
	s_mov_b64 exec, s[20:21]                                   // 0000000069E8: BEFE0114
	global_atomic_pk_add_f16 v80, v65, s[8:9] offset:256       // 0000000069EC: DD388100 00084150
	s_mov_b64 exec, s[36:37]                                   // 0000000069F4: BEFE0124
	s_mov_b64 exec, s[22:23]                                   // 0000000069F8: BEFE0116
	global_atomic_pk_add_f16 v82, v66, s[8:9]                  // 0000000069FC: DD388000 00084252
	s_mov_b64 exec, s[36:37]                                   // 000000006A04: BEFE0124
	s_mov_b64 exec, s[22:23]                                   // 000000006A08: BEFE0116
	global_atomic_pk_add_f16 v82, v67, s[8:9] offset:256       // 000000006A0C: DD388100 00084352
	s_mov_b64 exec, s[36:37]                                   // 000000006A14: BEFE0124
	s_mov_b64 exec, s[24:25]                                   // 000000006A18: BEFE0118
	global_atomic_pk_add_f16 v84, v68, s[8:9]                  // 000000006A1C: DD388000 00084454
	s_mov_b64 exec, s[36:37]                                   // 000000006A24: BEFE0124
	s_mov_b64 exec, s[24:25]                                   // 000000006A28: BEFE0118
	global_atomic_pk_add_f16 v84, v69, s[8:9] offset:256       // 000000006A2C: DD388100 00084554
	s_mov_b64 exec, s[36:37]                                   // 000000006A34: BEFE0124
	s_mov_b64 exec, s[26:27]                                   // 000000006A38: BEFE011A
	global_atomic_pk_add_f16 v86, v70, s[8:9]                  // 000000006A3C: DD388000 00084656
	s_mov_b64 exec, s[36:37]                                   // 000000006A44: BEFE0124
	s_mov_b64 exec, s[26:27]                                   // 000000006A48: BEFE011A
	global_atomic_pk_add_f16 v86, v71, s[8:9] offset:256       // 000000006A4C: DD388100 00084756
	s_mov_b64 exec, s[36:37]                                   // 000000006A54: BEFE0124
	s_mov_b64 exec, s[28:29]                                   // 000000006A58: BEFE011C
	global_atomic_pk_add_f16 v88, v72, s[8:9]                  // 000000006A5C: DD388000 00084858
	s_mov_b64 exec, s[36:37]                                   // 000000006A64: BEFE0124
	s_mov_b64 exec, s[28:29]                                   // 000000006A68: BEFE011C
	global_atomic_pk_add_f16 v88, v73, s[8:9] offset:256       // 000000006A6C: DD388100 00084958
	s_mov_b64 exec, s[36:37]                                   // 000000006A74: BEFE0124
	s_mov_b64 exec, s[30:31]                                   // 000000006A78: BEFE011E
	global_atomic_pk_add_f16 v90, v74, s[8:9]                  // 000000006A7C: DD388000 00084A5A
	s_mov_b64 exec, s[36:37]                                   // 000000006A84: BEFE0124
	s_mov_b64 exec, s[30:31]                                   // 000000006A88: BEFE011E
	global_atomic_pk_add_f16 v90, v75, s[8:9] offset:256       // 000000006A8C: DD388100 00084B5A
	s_mov_b64 exec, s[36:37]                                   // 000000006A94: BEFE0124
	s_mov_b64 exec, s[32:33]                                   // 000000006A98: BEFE0120
	global_atomic_pk_add_f16 v92, v76, s[8:9]                  // 000000006A9C: DD388000 00084C5C
	s_mov_b64 exec, s[36:37]                                   // 000000006AA4: BEFE0124
	s_mov_b64 exec, s[32:33]                                   // 000000006AA8: BEFE0120
	global_atomic_pk_add_f16 v92, v77, s[8:9] offset:256       // 000000006AAC: DD388100 00084D5C
	s_mov_b64 exec, s[36:37]                                   // 000000006AB4: BEFE0124
	s_mov_b64 exec, s[34:35]                                   // 000000006AB8: BEFE0122
	global_atomic_pk_add_f16 v94, v78, s[8:9]                  // 000000006ABC: DD388000 00084E5E
	s_mov_b64 exec, s[36:37]                                   // 000000006AC4: BEFE0124
	s_mov_b64 exec, s[34:35]                                   // 000000006AC8: BEFE0122
	global_atomic_pk_add_f16 v94, v79, s[8:9] offset:256       // 000000006ACC: DD388100 00084F5E
	s_mov_b64 exec, s[36:37]                                   // 000000006AD4: BEFE0124
	s_add_u32 s8, s59, s8                                      // 000000006AD8: 8008083B
	s_addc_u32 s9, 0, s9                                       // 000000006ADC: 82090980
	s_addk_i32 s80, 0x100                                      // 000000006AE0: B7500100
	s_cmp_lt_i32 s80, s81                                      // 000000006AE4: BF045150
	s_cbranch_scc0 label_11D7                                  // 000000006AE8: BF84029C
	s_waitcnt vmcnt(45)                                        // 000000006AEC: BF8C8F7D
	s_barrier                                                  // 000000006AF0: BF8A0000
	v_mfma_i32_16x16x32_i8 v[224:227], a[128:129], v[128:129], 0// 000000006AF4: D3D700E0 0A030180
	v_mfma_i32_16x16x32_i8 v[224:227], a[130:131], v[130:131], v[224:227]// 000000006AFC: D3D700E0 0F830582
	buffer_load_dwordx4 a[0:3], v42, s[12:15], 0 offen         // 000000006B04: E05C1000 8083002A
	v_mfma_i32_16x16x32_i8 v[228:231], a[128:129], v[160:161], 0// 000000006B0C: D3D700E4 0A034180
	v_mfma_i32_16x16x32_i8 v[228:231], a[130:131], v[162:163], v[228:231]// 000000006B14: D3D700E4 0F934582
	v_mfma_i32_16x16x32_i8 v[232:235], a[132:133], v[128:129], 0// 000000006B1C: D3D700E8 0A030184
	v_mfma_i32_16x16x32_i8 v[232:235], a[134:135], v[130:131], v[232:235]// 000000006B24: D3D700E8 0FA30586
	buffer_load_dwordx4 a[4:7], v43, s[12:15], 0 offen         // 000000006B2C: E05C1000 8083042B
	v_mfma_i32_16x16x32_i8 v[236:239], a[132:133], v[160:161], 0// 000000006B34: D3D700EC 0A034184
	v_mfma_i32_16x16x32_i8 v[236:239], a[134:135], v[162:163], v[236:239]// 000000006B3C: D3D700EC 0FB34586
	v_mfma_i32_16x16x32_i8 v[240:243], a[136:137], v[128:129], 0// 000000006B44: D3D700F0 0A030188
	v_mfma_i32_16x16x32_i8 v[240:243], a[138:139], v[130:131], v[240:243]// 000000006B4C: D3D700F0 0FC3058A
	buffer_load_dwordx4 a[8:11], v44, s[12:15], 0 offen        // 000000006B54: E05C1000 8083082C
	v_mfma_i32_16x16x32_i8 v[244:247], a[136:137], v[160:161], 0// 000000006B5C: D3D700F4 0A034188
	v_mfma_i32_16x16x32_i8 v[244:247], a[138:139], v[162:163], v[244:247]// 000000006B64: D3D700F4 0FD3458A
	v_mfma_i32_16x16x32_i8 v[248:251], a[140:141], v[128:129], 0// 000000006B6C: D3D700F8 0A03018C
	v_mfma_i32_16x16x32_i8 v[248:251], a[142:143], v[130:131], v[248:251]// 000000006B74: D3D700F8 0FE3058E
	buffer_load_dwordx4 a[12:15], v45, s[12:15], 0 offen       // 000000006B7C: E05C1000 80830C2D
	s_add_u32 s12, s78, s12                                    // 000000006B84: 800C0C4E
	s_addc_u32 s13, 0, s13                                     // 000000006B88: 820D0D80
	v_mfma_i32_16x16x32_i8 v[252:255], a[140:141], v[160:161], 0// 000000006B8C: D3D700FC 0A03418C
	v_mfma_i32_16x16x32_i8 v[252:255], a[142:143], v[162:163], v[252:255]// 000000006B94: D3D700FC 0FF3458E
	s_waitcnt vmcnt(45)                                        // 000000006B9C: BF8C8F7D
	v_mfma_i32_16x16x32_i8 v[224:227], a[144:145], v[132:133], v[224:227]// 000000006BA0: D3D700E0 0F830990
	v_mfma_i32_16x16x32_i8 v[224:227], a[146:147], v[134:135], v[224:227]// 000000006BA8: D3D700E0 0F830D92
	buffer_load_dwordx4 a[16:19], v42, s[12:15], 0 offen       // 000000006BB0: E05C1000 8083102A
	v_mfma_i32_16x16x32_i8 v[228:231], a[144:145], v[164:165], v[228:231]// 000000006BB8: D3D700E4 0F934990
	v_mfma_i32_16x16x32_i8 v[228:231], a[146:147], v[166:167], v[228:231]// 000000006BC0: D3D700E4 0F934D92
	v_mfma_i32_16x16x32_i8 v[232:235], a[148:149], v[132:133], v[232:235]// 000000006BC8: D3D700E8 0FA30994
	v_mfma_i32_16x16x32_i8 v[232:235], a[150:151], v[134:135], v[232:235]// 000000006BD0: D3D700E8 0FA30D96
	buffer_load_dwordx4 a[20:23], v43, s[12:15], 0 offen       // 000000006BD8: E05C1000 8083142B
	v_mfma_i32_16x16x32_i8 v[236:239], a[148:149], v[164:165], v[236:239]// 000000006BE0: D3D700EC 0FB34994
	v_mfma_i32_16x16x32_i8 v[236:239], a[150:151], v[166:167], v[236:239]// 000000006BE8: D3D700EC 0FB34D96
	v_mfma_i32_16x16x32_i8 v[240:243], a[152:153], v[132:133], v[240:243]// 000000006BF0: D3D700F0 0FC30998
	v_mfma_i32_16x16x32_i8 v[240:243], a[154:155], v[134:135], v[240:243]// 000000006BF8: D3D700F0 0FC30D9A
	buffer_load_dwordx4 a[24:27], v44, s[12:15], 0 offen       // 000000006C00: E05C1000 8083182C
	v_mfma_i32_16x16x32_i8 v[244:247], a[152:153], v[164:165], v[244:247]// 000000006C08: D3D700F4 0FD34998
	v_mfma_i32_16x16x32_i8 v[244:247], a[154:155], v[166:167], v[244:247]// 000000006C10: D3D700F4 0FD34D9A
	v_mfma_i32_16x16x32_i8 v[248:251], a[156:157], v[132:133], v[248:251]// 000000006C18: D3D700F8 0FE3099C
	v_mfma_i32_16x16x32_i8 v[248:251], a[158:159], v[134:135], v[248:251]// 000000006C20: D3D700F8 0FE30D9E
	buffer_load_dwordx4 a[28:31], v45, s[12:15], 0 offen       // 000000006C28: E05C1000 80831C2D
	s_add_u32 s12, s78, s12                                    // 000000006C30: 800C0C4E
	s_addc_u32 s13, 0, s13                                     // 000000006C34: 820D0D80
	v_mfma_i32_16x16x32_i8 v[252:255], a[156:157], v[164:165], v[252:255]// 000000006C38: D3D700FC 0FF3499C
	v_mfma_i32_16x16x32_i8 v[252:255], a[158:159], v[166:167], v[252:255]// 000000006C40: D3D700FC 0FF34D9E
	s_waitcnt vmcnt(45)                                        // 000000006C48: BF8C8F7D
	v_mfma_i32_16x16x32_i8 v[224:227], a[160:161], v[136:137], v[224:227]// 000000006C4C: D3D700E0 0F8311A0
	v_mfma_i32_16x16x32_i8 v[224:227], a[162:163], v[138:139], v[224:227]// 000000006C54: D3D700E0 0F8315A2
	buffer_load_dwordx4 a[32:35], v42, s[12:15], 0 offen       // 000000006C5C: E05C1000 8083202A
	v_mfma_i32_16x16x32_i8 v[228:231], a[160:161], v[168:169], v[228:231]// 000000006C64: D3D700E4 0F9351A0
	v_mfma_i32_16x16x32_i8 v[228:231], a[162:163], v[170:171], v[228:231]// 000000006C6C: D3D700E4 0F9355A2
	v_mfma_i32_16x16x32_i8 v[232:235], a[164:165], v[136:137], v[232:235]// 000000006C74: D3D700E8 0FA311A4
	v_mfma_i32_16x16x32_i8 v[232:235], a[166:167], v[138:139], v[232:235]// 000000006C7C: D3D700E8 0FA315A6
	buffer_load_dwordx4 a[36:39], v43, s[12:15], 0 offen       // 000000006C84: E05C1000 8083242B
	v_mfma_i32_16x16x32_i8 v[236:239], a[164:165], v[168:169], v[236:239]// 000000006C8C: D3D700EC 0FB351A4
	v_mfma_i32_16x16x32_i8 v[236:239], a[166:167], v[170:171], v[236:239]// 000000006C94: D3D700EC 0FB355A6
	v_mfma_i32_16x16x32_i8 v[240:243], a[168:169], v[136:137], v[240:243]// 000000006C9C: D3D700F0 0FC311A8
	v_mfma_i32_16x16x32_i8 v[240:243], a[170:171], v[138:139], v[240:243]// 000000006CA4: D3D700F0 0FC315AA
	buffer_load_dwordx4 a[40:43], v44, s[12:15], 0 offen       // 000000006CAC: E05C1000 8083282C
	v_mfma_i32_16x16x32_i8 v[244:247], a[168:169], v[168:169], v[244:247]// 000000006CB4: D3D700F4 0FD351A8
	v_mfma_i32_16x16x32_i8 v[244:247], a[170:171], v[170:171], v[244:247]// 000000006CBC: D3D700F4 0FD355AA
	v_mfma_i32_16x16x32_i8 v[248:251], a[172:173], v[136:137], v[248:251]// 000000006CC4: D3D700F8 0FE311AC
	v_mfma_i32_16x16x32_i8 v[248:251], a[174:175], v[138:139], v[248:251]// 000000006CCC: D3D700F8 0FE315AE
	buffer_load_dwordx4 a[44:47], v45, s[12:15], 0 offen       // 000000006CD4: E05C1000 80832C2D
	s_add_u32 s12, s78, s12                                    // 000000006CDC: 800C0C4E
	s_addc_u32 s13, 0, s13                                     // 000000006CE0: 820D0D80
	v_mfma_i32_16x16x32_i8 v[252:255], a[172:173], v[168:169], v[252:255]// 000000006CE4: D3D700FC 0FF351AC
	v_mfma_i32_16x16x32_i8 v[252:255], a[174:175], v[170:171], v[252:255]// 000000006CEC: D3D700FC 0FF355AE
	s_waitcnt vmcnt(45)                                        // 000000006CF4: BF8C8F7D
	v_mfma_i32_16x16x32_i8 v[224:227], a[176:177], v[140:141], v[224:227]// 000000006CF8: D3D700E0 0F8319B0
	v_mfma_i32_16x16x32_i8 v[224:227], a[178:179], v[142:143], v[224:227]// 000000006D00: D3D700E0 0F831DB2
	buffer_load_dwordx4 a[48:51], v42, s[12:15], 0 offen       // 000000006D08: E05C1000 8083302A
	v_mfma_i32_16x16x32_i8 v[228:231], a[176:177], v[172:173], v[228:231]// 000000006D10: D3D700E4 0F9359B0
	v_mfma_i32_16x16x32_i8 v[228:231], a[178:179], v[174:175], v[228:231]// 000000006D18: D3D700E4 0F935DB2
	v_mfma_i32_16x16x32_i8 v[232:235], a[180:181], v[140:141], v[232:235]// 000000006D20: D3D700E8 0FA319B4
	v_mfma_i32_16x16x32_i8 v[232:235], a[182:183], v[142:143], v[232:235]// 000000006D28: D3D700E8 0FA31DB6
	buffer_load_dwordx4 a[52:55], v43, s[12:15], 0 offen       // 000000006D30: E05C1000 8083342B
	v_mfma_i32_16x16x32_i8 v[236:239], a[180:181], v[172:173], v[236:239]// 000000006D38: D3D700EC 0FB359B4
	v_mfma_i32_16x16x32_i8 v[236:239], a[182:183], v[174:175], v[236:239]// 000000006D40: D3D700EC 0FB35DB6
	v_mfma_i32_16x16x32_i8 v[240:243], a[184:185], v[140:141], v[240:243]// 000000006D48: D3D700F0 0FC319B8
	v_mfma_i32_16x16x32_i8 v[240:243], a[186:187], v[142:143], v[240:243]// 000000006D50: D3D700F0 0FC31DBA
	buffer_load_dwordx4 a[56:59], v44, s[12:15], 0 offen       // 000000006D58: E05C1000 8083382C
	v_mfma_i32_16x16x32_i8 v[244:247], a[184:185], v[172:173], v[244:247]// 000000006D60: D3D700F4 0FD359B8
	v_mfma_i32_16x16x32_i8 v[244:247], a[186:187], v[174:175], v[244:247]// 000000006D68: D3D700F4 0FD35DBA
	v_mfma_i32_16x16x32_i8 v[248:251], a[188:189], v[140:141], v[248:251]// 000000006D70: D3D700F8 0FE319BC
	v_mfma_i32_16x16x32_i8 v[248:251], a[190:191], v[142:143], v[248:251]// 000000006D78: D3D700F8 0FE31DBE
	buffer_load_dwordx4 a[60:63], v45, s[12:15], 0 offen       // 000000006D80: E05C1000 80833C2D
	s_add_u32 s12, s78, s12                                    // 000000006D88: 800C0C4E
	s_addc_u32 s13, 0, s13                                     // 000000006D8C: 820D0D80
	v_mfma_i32_16x16x32_i8 v[252:255], a[188:189], v[172:173], v[252:255]// 000000006D90: D3D700FC 0FF359BC
	v_mfma_i32_16x16x32_i8 v[252:255], a[190:191], v[174:175], v[252:255]// 000000006D98: D3D700FC 0FF35DBE
	s_waitcnt vmcnt(45)                                        // 000000006DA0: BF8C8F7D
	v_mfma_i32_16x16x32_i8 v[224:227], a[192:193], v[144:145], v[224:227]// 000000006DA4: D3D700E0 0F8321C0
	v_mfma_i32_16x16x32_i8 v[224:227], a[194:195], v[146:147], v[224:227]// 000000006DAC: D3D700E0 0F8325C2
	buffer_load_dwordx4 a[64:67], v42, s[12:15], 0 offen       // 000000006DB4: E05C1000 8083402A
	v_mfma_i32_16x16x32_i8 v[228:231], a[192:193], v[176:177], v[228:231]// 000000006DBC: D3D700E4 0F9361C0
	v_mfma_i32_16x16x32_i8 v[228:231], a[194:195], v[178:179], v[228:231]// 000000006DC4: D3D700E4 0F9365C2
	v_mfma_i32_16x16x32_i8 v[232:235], a[196:197], v[144:145], v[232:235]// 000000006DCC: D3D700E8 0FA321C4
	v_mfma_i32_16x16x32_i8 v[232:235], a[198:199], v[146:147], v[232:235]// 000000006DD4: D3D700E8 0FA325C6
	buffer_load_dwordx4 a[68:71], v43, s[12:15], 0 offen       // 000000006DDC: E05C1000 8083442B
	v_mfma_i32_16x16x32_i8 v[236:239], a[196:197], v[176:177], v[236:239]// 000000006DE4: D3D700EC 0FB361C4
	v_mfma_i32_16x16x32_i8 v[236:239], a[198:199], v[178:179], v[236:239]// 000000006DEC: D3D700EC 0FB365C6
	v_mfma_i32_16x16x32_i8 v[240:243], a[200:201], v[144:145], v[240:243]// 000000006DF4: D3D700F0 0FC321C8
	v_mfma_i32_16x16x32_i8 v[240:243], a[202:203], v[146:147], v[240:243]// 000000006DFC: D3D700F0 0FC325CA
	buffer_load_dwordx4 a[72:75], v44, s[12:15], 0 offen       // 000000006E04: E05C1000 8083482C
	v_mfma_i32_16x16x32_i8 v[244:247], a[200:201], v[176:177], v[244:247]// 000000006E0C: D3D700F4 0FD361C8
	v_mfma_i32_16x16x32_i8 v[244:247], a[202:203], v[178:179], v[244:247]// 000000006E14: D3D700F4 0FD365CA
	v_mfma_i32_16x16x32_i8 v[248:251], a[204:205], v[144:145], v[248:251]// 000000006E1C: D3D700F8 0FE321CC
	v_mfma_i32_16x16x32_i8 v[248:251], a[206:207], v[146:147], v[248:251]// 000000006E24: D3D700F8 0FE325CE
	buffer_load_dwordx4 a[76:79], v45, s[12:15], 0 offen       // 000000006E2C: E05C1000 80834C2D
	s_add_u32 s12, s78, s12                                    // 000000006E34: 800C0C4E
	s_addc_u32 s13, 0, s13                                     // 000000006E38: 820D0D80
	v_mfma_i32_16x16x32_i8 v[252:255], a[204:205], v[176:177], v[252:255]// 000000006E3C: D3D700FC 0FF361CC
	v_mfma_i32_16x16x32_i8 v[252:255], a[206:207], v[178:179], v[252:255]// 000000006E44: D3D700FC 0FF365CE
	s_waitcnt vmcnt(45)                                        // 000000006E4C: BF8C8F7D
	v_mfma_i32_16x16x32_i8 v[224:227], a[208:209], v[148:149], v[224:227]// 000000006E50: D3D700E0 0F8329D0
	v_mfma_i32_16x16x32_i8 v[224:227], a[210:211], v[150:151], v[224:227]// 000000006E58: D3D700E0 0F832DD2
	buffer_load_dwordx4 a[80:83], v42, s[12:15], 0 offen       // 000000006E60: E05C1000 8083502A
	v_mfma_i32_16x16x32_i8 v[228:231], a[208:209], v[180:181], v[228:231]// 000000006E68: D3D700E4 0F9369D0
	v_mfma_i32_16x16x32_i8 v[228:231], a[210:211], v[182:183], v[228:231]// 000000006E70: D3D700E4 0F936DD2
	v_mfma_i32_16x16x32_i8 v[232:235], a[212:213], v[148:149], v[232:235]// 000000006E78: D3D700E8 0FA329D4
	v_mfma_i32_16x16x32_i8 v[232:235], a[214:215], v[150:151], v[232:235]// 000000006E80: D3D700E8 0FA32DD6
	buffer_load_dwordx4 a[84:87], v43, s[12:15], 0 offen       // 000000006E88: E05C1000 8083542B
	v_mfma_i32_16x16x32_i8 v[236:239], a[212:213], v[180:181], v[236:239]// 000000006E90: D3D700EC 0FB369D4
	v_mfma_i32_16x16x32_i8 v[236:239], a[214:215], v[182:183], v[236:239]// 000000006E98: D3D700EC 0FB36DD6
	v_mfma_i32_16x16x32_i8 v[240:243], a[216:217], v[148:149], v[240:243]// 000000006EA0: D3D700F0 0FC329D8
	v_mfma_i32_16x16x32_i8 v[240:243], a[218:219], v[150:151], v[240:243]// 000000006EA8: D3D700F0 0FC32DDA
	buffer_load_dwordx4 a[88:91], v44, s[12:15], 0 offen       // 000000006EB0: E05C1000 8083582C
	v_mfma_i32_16x16x32_i8 v[244:247], a[216:217], v[180:181], v[244:247]// 000000006EB8: D3D700F4 0FD369D8
	v_mfma_i32_16x16x32_i8 v[244:247], a[218:219], v[182:183], v[244:247]// 000000006EC0: D3D700F4 0FD36DDA
	v_mfma_i32_16x16x32_i8 v[248:251], a[220:221], v[148:149], v[248:251]// 000000006EC8: D3D700F8 0FE329DC
	v_mfma_i32_16x16x32_i8 v[248:251], a[222:223], v[150:151], v[248:251]// 000000006ED0: D3D700F8 0FE32DDE
	buffer_load_dwordx4 a[92:95], v45, s[12:15], 0 offen       // 000000006ED8: E05C1000 80835C2D
	s_add_u32 s12, s78, s12                                    // 000000006EE0: 800C0C4E
	s_addc_u32 s13, 0, s13                                     // 000000006EE4: 820D0D80
	v_mfma_i32_16x16x32_i8 v[252:255], a[220:221], v[180:181], v[252:255]// 000000006EE8: D3D700FC 0FF369DC
	v_mfma_i32_16x16x32_i8 v[252:255], a[222:223], v[182:183], v[252:255]// 000000006EF0: D3D700FC 0FF36DDE
	s_waitcnt vmcnt(45)                                        // 000000006EF8: BF8C8F7D
	v_mfma_i32_16x16x32_i8 v[224:227], a[224:225], v[152:153], v[224:227]// 000000006EFC: D3D700E0 0F8331E0
	v_mfma_i32_16x16x32_i8 v[224:227], a[226:227], v[154:155], v[224:227]// 000000006F04: D3D700E0 0F8335E2
	buffer_load_dwordx4 a[96:99], v42, s[12:15], 0 offen       // 000000006F0C: E05C1000 8083602A
	v_mfma_i32_16x16x32_i8 v[228:231], a[224:225], v[184:185], v[228:231]// 000000006F14: D3D700E4 0F9371E0
	v_mfma_i32_16x16x32_i8 v[228:231], a[226:227], v[186:187], v[228:231]// 000000006F1C: D3D700E4 0F9375E2
	v_mfma_i32_16x16x32_i8 v[232:235], a[228:229], v[152:153], v[232:235]// 000000006F24: D3D700E8 0FA331E4
	v_mfma_i32_16x16x32_i8 v[232:235], a[230:231], v[154:155], v[232:235]// 000000006F2C: D3D700E8 0FA335E6
	buffer_load_dwordx4 a[100:103], v43, s[12:15], 0 offen     // 000000006F34: E05C1000 8083642B
	v_mfma_i32_16x16x32_i8 v[236:239], a[228:229], v[184:185], v[236:239]// 000000006F3C: D3D700EC 0FB371E4
	v_mfma_i32_16x16x32_i8 v[236:239], a[230:231], v[186:187], v[236:239]// 000000006F44: D3D700EC 0FB375E6
	v_mfma_i32_16x16x32_i8 v[240:243], a[232:233], v[152:153], v[240:243]// 000000006F4C: D3D700F0 0FC331E8
	v_mfma_i32_16x16x32_i8 v[240:243], a[234:235], v[154:155], v[240:243]// 000000006F54: D3D700F0 0FC335EA
	buffer_load_dwordx4 a[104:107], v44, s[12:15], 0 offen     // 000000006F5C: E05C1000 8083682C
	v_mfma_i32_16x16x32_i8 v[244:247], a[232:233], v[184:185], v[244:247]// 000000006F64: D3D700F4 0FD371E8
	v_mfma_i32_16x16x32_i8 v[244:247], a[234:235], v[186:187], v[244:247]// 000000006F6C: D3D700F4 0FD375EA
	v_mfma_i32_16x16x32_i8 v[248:251], a[236:237], v[152:153], v[248:251]// 000000006F74: D3D700F8 0FE331EC
	v_mfma_i32_16x16x32_i8 v[248:251], a[238:239], v[154:155], v[248:251]// 000000006F7C: D3D700F8 0FE335EE
	buffer_load_dwordx4 a[108:111], v45, s[12:15], 0 offen     // 000000006F84: E05C1000 80836C2D
	s_add_u32 s12, s78, s12                                    // 000000006F8C: 800C0C4E
	s_addc_u32 s13, 0, s13                                     // 000000006F90: 820D0D80
	v_mfma_i32_16x16x32_i8 v[252:255], a[236:237], v[184:185], v[252:255]// 000000006F94: D3D700FC 0FF371EC
	v_mfma_i32_16x16x32_i8 v[252:255], a[238:239], v[186:187], v[252:255]// 000000006F9C: D3D700FC 0FF375EE
	s_waitcnt vmcnt(44)                                        // 000000006FA4: BF8C8F7C
	v_mfma_i32_16x16x32_i8 v[224:227], a[240:241], v[156:157], v[224:227]// 000000006FA8: D3D700E0 0F8339F0
	v_mfma_i32_16x16x32_i8 v[224:227], a[242:243], v[158:159], v[224:227]// 000000006FB0: D3D700E0 0F833DF2
	buffer_load_dwordx4 a[112:115], v42, s[12:15], 0 offen     // 000000006FB8: E05C1000 8083702A
	v_mfma_i32_16x16x32_i8 v[228:231], a[240:241], v[188:189], v[228:231]// 000000006FC0: D3D700E4 0F9379F0
	v_mfma_i32_16x16x32_i8 v[228:231], a[242:243], v[190:191], v[228:231]// 000000006FC8: D3D700E4 0F937DF2
	buffer_load_dword v12, v5, s[16:19], 0 offen               // 000000006FD0: E0501000 80040C05
	v_mfma_i32_16x16x32_i8 v[232:235], a[244:245], v[156:157], v[232:235]// 000000006FD8: D3D700E8 0FA339F4
	v_mfma_i32_16x16x32_i8 v[232:235], a[246:247], v[158:159], v[232:235]// 000000006FE0: D3D700E8 0FA33DF6
	buffer_load_dwordx4 a[116:119], v43, s[12:15], 0 offen     // 000000006FE8: E05C1000 8083742B
	v_mfma_i32_16x16x32_i8 v[236:239], a[244:245], v[188:189], v[236:239]// 000000006FF0: D3D700EC 0FB379F4
	v_mfma_i32_16x16x32_i8 v[236:239], a[246:247], v[190:191], v[236:239]// 000000006FF8: D3D700EC 0FB37DF6
	v_mfma_i32_16x16x32_i8 v[240:243], a[248:249], v[156:157], v[240:243]// 000000007000: D3D700F0 0FC339F8
	v_mfma_i32_16x16x32_i8 v[240:243], a[250:251], v[158:159], v[240:243]// 000000007008: D3D700F0 0FC33DFA
	buffer_load_dwordx4 a[120:123], v44, s[12:15], 0 offen     // 000000007010: E05C1000 8083782C
	v_mfma_i32_16x16x32_i8 v[244:247], a[248:249], v[188:189], v[244:247]// 000000007018: D3D700F4 0FD379F8
	v_mfma_i32_16x16x32_i8 v[244:247], a[250:251], v[190:191], v[244:247]// 000000007020: D3D700F4 0FD37DFA
	v_mfma_i32_16x16x32_i8 v[248:251], a[252:253], v[156:157], v[248:251]// 000000007028: D3D700F8 0FE339FC
	v_mfma_i32_16x16x32_i8 v[248:251], a[254:255], v[158:159], v[248:251]// 000000007030: D3D700F8 0FE33DFE
	buffer_load_dwordx4 a[124:127], v45, s[12:15], 0 offen     // 000000007038: E05C1000 80837C2D
	v_mfma_i32_16x16x32_i8 v[252:255], a[252:253], v[188:189], v[252:255]// 000000007040: D3D700FC 0FF379FC
	v_mfma_i32_16x16x32_i8 v[252:255], a[254:255], v[190:191], v[252:255]// 000000007048: D3D700FC 0FF37DFE
	s_add_u32 s60, 0x200, s80                                  // 000000007050: 803C50FF 00000200
	s_cmp_lt_u32 s60, s81                                      // 000000007058: BF0A513C
	s_cselect_b32 s56, s56, 0                                  // 00000000705C: 85388038
	s_cselect_b32 s78, s78, 0                                  // 000000007060: 854E804E
	s_cselect_b32 s79, s79, 0                                  // 000000007064: 854F804F
	s_add_u32 s12, s56, s12                                    // 000000007068: 800C0C38
	s_addc_u32 s13, 0, s13                                     // 00000000706C: 820D0D80
	s_add_u32 s16, s79, s16                                    // 000000007070: 8010104F
	s_addc_u32 s17, 0, s17                                     // 000000007074: 82111180
	v_cvt_f32_i32_e32 v224, v224                               // 000000007078: 7FC00BE0
	v_cvt_f32_i32_e32 v225, v225                               // 00000000707C: 7FC20BE1
	v_cvt_f32_i32_e32 v226, v226                               // 000000007080: 7FC40BE2
	v_cvt_f32_i32_e32 v227, v227                               // 000000007084: 7FC60BE3
	v_mul_f32_e32 v224, v24, v224                              // 000000007088: 0BC1C118
	v_mul_f32_e32 v225, v24, v225                              // 00000000708C: 0BC3C318
	v_mul_f32_e32 v226, v24, v226                              // 000000007090: 0BC5C518
	v_mul_f32_e32 v227, v24, v227                              // 000000007094: 0BC7C718
	v_mul_f32_dpp v224, v13, v224 row_newbcast:0 row_mask:0xf bank_mask:0xf// 000000007098: 0BC1C0FA FF01500D
	v_mul_f32_dpp v225, v13, v225 row_newbcast:1 row_mask:0xf bank_mask:0xf// 0000000070A0: 0BC3C2FA FF01510D
	v_mul_f32_dpp v226, v13, v226 row_newbcast:2 row_mask:0xf bank_mask:0xf// 0000000070A8: 0BC5C4FA FF01520D
	v_mul_f32_dpp v227, v13, v227 row_newbcast:3 row_mask:0xf bank_mask:0xf// 0000000070B0: 0BC7C6FA FF01530D
	v_mul_f32_e32 v224, v20, v224                              // 0000000070B8: 0BC1C114
	v_mul_f32_e32 v225, v20, v225                              // 0000000070BC: 0BC3C314
	v_mul_f32_e32 v226, v20, v226                              // 0000000070C0: 0BC5C514
	v_mul_f32_e32 v227, v20, v227                              // 0000000070C4: 0BC7C714
	v_cvt_f32_i32_e32 v228, v228                               // 0000000070C8: 7FC80BE4
	v_cvt_f32_i32_e32 v229, v229                               // 0000000070CC: 7FCA0BE5
	v_cvt_f32_i32_e32 v230, v230                               // 0000000070D0: 7FCC0BE6
	v_cvt_f32_i32_e32 v231, v231                               // 0000000070D4: 7FCE0BE7
	v_mul_f32_e32 v228, v25, v228                              // 0000000070D8: 0BC9C919
	v_mul_f32_e32 v229, v25, v229                              // 0000000070DC: 0BCBCB19
	v_mul_f32_e32 v230, v25, v230                              // 0000000070E0: 0BCDCD19
	v_mul_f32_e32 v231, v25, v231                              // 0000000070E4: 0BCFCF19
	v_mul_f32_dpp v228, v13, v228 row_newbcast:0 row_mask:0xf bank_mask:0xf// 0000000070E8: 0BC9C8FA FF01500D
	v_mul_f32_dpp v229, v13, v229 row_newbcast:1 row_mask:0xf bank_mask:0xf// 0000000070F0: 0BCBCAFA FF01510D
	v_mul_f32_dpp v230, v13, v230 row_newbcast:2 row_mask:0xf bank_mask:0xf// 0000000070F8: 0BCDCCFA FF01520D
	v_mul_f32_dpp v231, v13, v231 row_newbcast:3 row_mask:0xf bank_mask:0xf// 000000007100: 0BCFCEFA FF01530D
	v_mul_f32_e32 v228, v21, v228                              // 000000007108: 0BC9C915
	v_mul_f32_e32 v229, v21, v229                              // 00000000710C: 0BCBCB15
	v_mul_f32_e32 v230, v21, v230                              // 000000007110: 0BCDCD15
	v_mul_f32_e32 v231, v21, v231                              // 000000007114: 0BCFCF15
	v_cvt_f32_i32_e32 v232, v232                               // 000000007118: 7FD00BE8
	v_cvt_f32_i32_e32 v233, v233                               // 00000000711C: 7FD20BE9
	v_cvt_f32_i32_e32 v234, v234                               // 000000007120: 7FD40BEA
	v_cvt_f32_i32_e32 v235, v235                               // 000000007124: 7FD60BEB
	v_mul_f32_e32 v232, v24, v232                              // 000000007128: 0BD1D118
	v_mul_f32_e32 v233, v24, v233                              // 00000000712C: 0BD3D318
	v_mul_f32_e32 v234, v24, v234                              // 000000007130: 0BD5D518
	v_mul_f32_e32 v235, v24, v235                              // 000000007134: 0BD7D718
	v_mul_f32_dpp v232, v13, v232 row_newbcast:4 row_mask:0xf bank_mask:0xf// 000000007138: 0BD1D0FA FF01540D
	v_mul_f32_dpp v233, v13, v233 row_newbcast:5 row_mask:0xf bank_mask:0xf// 000000007140: 0BD3D2FA FF01550D
	v_mul_f32_dpp v234, v13, v234 row_newbcast:6 row_mask:0xf bank_mask:0xf// 000000007148: 0BD5D4FA FF01560D
	v_mul_f32_dpp v235, v13, v235 row_newbcast:7 row_mask:0xf bank_mask:0xf// 000000007150: 0BD7D6FA FF01570D
	v_mul_f32_e32 v232, v20, v232                              // 000000007158: 0BD1D114
	v_mul_f32_e32 v233, v20, v233                              // 00000000715C: 0BD3D314
	v_mul_f32_e32 v234, v20, v234                              // 000000007160: 0BD5D514
	v_mul_f32_e32 v235, v20, v235                              // 000000007164: 0BD7D714
	v_cvt_f32_i32_e32 v236, v236                               // 000000007168: 7FD80BEC
	v_cvt_f32_i32_e32 v237, v237                               // 00000000716C: 7FDA0BED
	v_cvt_f32_i32_e32 v238, v238                               // 000000007170: 7FDC0BEE
	v_cvt_f32_i32_e32 v239, v239                               // 000000007174: 7FDE0BEF
	v_mul_f32_e32 v236, v25, v236                              // 000000007178: 0BD9D919
	v_mul_f32_e32 v237, v25, v237                              // 00000000717C: 0BDBDB19
	v_mul_f32_e32 v238, v25, v238                              // 000000007180: 0BDDDD19
	v_mul_f32_e32 v239, v25, v239                              // 000000007184: 0BDFDF19
	v_mul_f32_dpp v236, v13, v236 row_newbcast:4 row_mask:0xf bank_mask:0xf// 000000007188: 0BD9D8FA FF01540D
	v_mul_f32_dpp v237, v13, v237 row_newbcast:5 row_mask:0xf bank_mask:0xf// 000000007190: 0BDBDAFA FF01550D
	v_mul_f32_dpp v238, v13, v238 row_newbcast:6 row_mask:0xf bank_mask:0xf// 000000007198: 0BDDDCFA FF01560D
	v_mul_f32_dpp v239, v13, v239 row_newbcast:7 row_mask:0xf bank_mask:0xf// 0000000071A0: 0BDFDEFA FF01570D
	v_mul_f32_e32 v236, v21, v236                              // 0000000071A8: 0BD9D915
	v_mul_f32_e32 v237, v21, v237                              // 0000000071AC: 0BDBDB15
	v_mul_f32_e32 v238, v21, v238                              // 0000000071B0: 0BDDDD15
	v_mul_f32_e32 v239, v21, v239                              // 0000000071B4: 0BDFDF15
	v_cvt_f32_i32_e32 v240, v240                               // 0000000071B8: 7FE00BF0
	v_cvt_f32_i32_e32 v241, v241                               // 0000000071BC: 7FE20BF1
	v_cvt_f32_i32_e32 v242, v242                               // 0000000071C0: 7FE40BF2
	v_cvt_f32_i32_e32 v243, v243                               // 0000000071C4: 7FE60BF3
	v_mul_f32_e32 v240, v24, v240                              // 0000000071C8: 0BE1E118
	v_mul_f32_e32 v241, v24, v241                              // 0000000071CC: 0BE3E318
	v_mul_f32_e32 v242, v24, v242                              // 0000000071D0: 0BE5E518
	v_mul_f32_e32 v243, v24, v243                              // 0000000071D4: 0BE7E718
	v_mul_f32_dpp v240, v13, v240 row_newbcast:8 row_mask:0xf bank_mask:0xf// 0000000071D8: 0BE1E0FA FF01580D
	v_mul_f32_dpp v241, v13, v241 row_newbcast:9 row_mask:0xf bank_mask:0xf// 0000000071E0: 0BE3E2FA FF01590D
	v_mul_f32_dpp v242, v13, v242 row_newbcast:10 row_mask:0xf bank_mask:0xf// 0000000071E8: 0BE5E4FA FF015A0D
	v_mul_f32_dpp v243, v13, v243 row_newbcast:11 row_mask:0xf bank_mask:0xf// 0000000071F0: 0BE7E6FA FF015B0D
	v_mul_f32_e32 v240, v20, v240                              // 0000000071F8: 0BE1E114
	v_mul_f32_e32 v241, v20, v241                              // 0000000071FC: 0BE3E314
	v_mul_f32_e32 v242, v20, v242                              // 000000007200: 0BE5E514
	v_mul_f32_e32 v243, v20, v243                              // 000000007204: 0BE7E714
	v_cvt_f32_i32_e32 v244, v244                               // 000000007208: 7FE80BF4
	v_cvt_f32_i32_e32 v245, v245                               // 00000000720C: 7FEA0BF5
	v_cvt_f32_i32_e32 v246, v246                               // 000000007210: 7FEC0BF6
	v_cvt_f32_i32_e32 v247, v247                               // 000000007214: 7FEE0BF7
	v_mul_f32_e32 v244, v25, v244                              // 000000007218: 0BE9E919
	v_mul_f32_e32 v245, v25, v245                              // 00000000721C: 0BEBEB19
	v_mul_f32_e32 v246, v25, v246                              // 000000007220: 0BEDED19
	v_mul_f32_e32 v247, v25, v247                              // 000000007224: 0BEFEF19
	v_mul_f32_dpp v244, v13, v244 row_newbcast:8 row_mask:0xf bank_mask:0xf// 000000007228: 0BE9E8FA FF01580D
	v_mul_f32_dpp v245, v13, v245 row_newbcast:9 row_mask:0xf bank_mask:0xf// 000000007230: 0BEBEAFA FF01590D
	v_mul_f32_dpp v246, v13, v246 row_newbcast:10 row_mask:0xf bank_mask:0xf// 000000007238: 0BEDECFA FF015A0D
	v_mul_f32_dpp v247, v13, v247 row_newbcast:11 row_mask:0xf bank_mask:0xf// 000000007240: 0BEFEEFA FF015B0D
	v_mul_f32_e32 v244, v21, v244                              // 000000007248: 0BE9E915
	v_mul_f32_e32 v245, v21, v245                              // 00000000724C: 0BEBEB15
	v_mul_f32_e32 v246, v21, v246                              // 000000007250: 0BEDED15
	v_mul_f32_e32 v247, v21, v247                              // 000000007254: 0BEFEF15
	v_cvt_f32_i32_e32 v248, v248                               // 000000007258: 7FF00BF8
	v_cvt_f32_i32_e32 v249, v249                               // 00000000725C: 7FF20BF9
	v_cvt_f32_i32_e32 v250, v250                               // 000000007260: 7FF40BFA
	v_cvt_f32_i32_e32 v251, v251                               // 000000007264: 7FF60BFB
	v_mul_f32_e32 v248, v24, v248                              // 000000007268: 0BF1F118
	v_mul_f32_e32 v249, v24, v249                              // 00000000726C: 0BF3F318
	v_mul_f32_e32 v250, v24, v250                              // 000000007270: 0BF5F518
	v_mul_f32_e32 v251, v24, v251                              // 000000007274: 0BF7F718
	v_mul_f32_dpp v248, v13, v248 row_newbcast:12 row_mask:0xf bank_mask:0xf// 000000007278: 0BF1F0FA FF015C0D
	v_mul_f32_dpp v249, v13, v249 row_newbcast:13 row_mask:0xf bank_mask:0xf// 000000007280: 0BF3F2FA FF015D0D
	v_mul_f32_dpp v250, v13, v250 row_newbcast:14 row_mask:0xf bank_mask:0xf// 000000007288: 0BF5F4FA FF015E0D
	v_mul_f32_dpp v251, v13, v251 row_newbcast:15 row_mask:0xf bank_mask:0xf// 000000007290: 0BF7F6FA FF015F0D
	v_mul_f32_e32 v248, v20, v248                              // 000000007298: 0BF1F114
	v_mul_f32_e32 v249, v20, v249                              // 00000000729C: 0BF3F314
	v_mul_f32_e32 v250, v20, v250                              // 0000000072A0: 0BF5F514
	v_mul_f32_e32 v251, v20, v251                              // 0000000072A4: 0BF7F714
	v_cvt_f32_i32_e32 v252, v252                               // 0000000072A8: 7FF80BFC
	v_cvt_f32_i32_e32 v253, v253                               // 0000000072AC: 7FFA0BFD
	v_cvt_f32_i32_e32 v254, v254                               // 0000000072B0: 7FFC0BFE
	v_cvt_f32_i32_e32 v255, v255                               // 0000000072B4: 7FFE0BFF
	v_mul_f32_e32 v252, v25, v252                              // 0000000072B8: 0BF9F919
	v_mul_f32_e32 v253, v25, v253                              // 0000000072BC: 0BFBFB19
	v_mul_f32_e32 v254, v25, v254                              // 0000000072C0: 0BFDFD19
	v_mul_f32_e32 v255, v25, v255                              // 0000000072C4: 0BFFFF19
	v_mul_f32_dpp v252, v13, v252 row_newbcast:12 row_mask:0xf bank_mask:0xf// 0000000072C8: 0BF9F8FA FF015C0D
	v_mul_f32_dpp v253, v13, v253 row_newbcast:13 row_mask:0xf bank_mask:0xf// 0000000072D0: 0BFBFAFA FF015D0D
	v_mul_f32_dpp v254, v13, v254 row_newbcast:14 row_mask:0xf bank_mask:0xf// 0000000072D8: 0BFDFCFA FF015E0D
	v_mul_f32_dpp v255, v13, v255 row_newbcast:15 row_mask:0xf bank_mask:0xf// 0000000072E0: 0BFFFEFA FF015F0D
	v_mul_f32_e32 v252, v21, v252                              // 0000000072E8: 0BF9F915
	v_mul_f32_e32 v253, v21, v253                              // 0000000072EC: 0BFBFB15
	v_mul_f32_e32 v254, v21, v254                              // 0000000072F0: 0BFDFD15
	v_mul_f32_e32 v255, v21, v255                              // 0000000072F4: 0BFFFF15
	v_cvt_pkrtz_f16_f32 v224, v224, v225                       // 0000000072F8: D29600E0 0003C3E0
	v_cvt_pkrtz_f16_f32 v225, v226, v227                       // 000000007300: D29600E1 0003C7E2
	v_cvt_pkrtz_f16_f32 v226, v228, v229                       // 000000007308: D29600E2 0003CBE4
	v_cvt_pkrtz_f16_f32 v227, v230, v231                       // 000000007310: D29600E3 0003CFE6
	v_cvt_pkrtz_f16_f32 v228, v232, v233                       // 000000007318: D29600E4 0003D3E8
	v_cvt_pkrtz_f16_f32 v229, v234, v235                       // 000000007320: D29600E5 0003D7EA
	v_cvt_pkrtz_f16_f32 v230, v236, v237                       // 000000007328: D29600E6 0003DBEC
	v_cvt_pkrtz_f16_f32 v231, v238, v239                       // 000000007330: D29600E7 0003DFEE
	v_cvt_pkrtz_f16_f32 v232, v240, v241                       // 000000007338: D29600E8 0003E3F0
	v_cvt_pkrtz_f16_f32 v233, v242, v243                       // 000000007340: D29600E9 0003E7F2
	v_cvt_pkrtz_f16_f32 v234, v244, v245                       // 000000007348: D29600EA 0003EBF4
	v_cvt_pkrtz_f16_f32 v235, v246, v247                       // 000000007350: D29600EB 0003EFF6
	v_cvt_pkrtz_f16_f32 v236, v248, v249                       // 000000007358: D29600EC 0003F3F8
	v_cvt_pkrtz_f16_f32 v237, v250, v251                       // 000000007360: D29600ED 0003F7FA
	v_cvt_pkrtz_f16_f32 v238, v252, v253                       // 000000007368: D29600EE 0003FBFC
	v_cvt_pkrtz_f16_f32 v239, v254, v255                       // 000000007370: D29600EF 0003FFFE
	ds_write_b64 v3, v[224:225] offset:35072                   // 000000007378: D89A8900 0000E003
	ds_write_b64 v3, v[226:227] offset:43776                   // 000000007380: D89AAB00 0000E203
	ds_write_b64 v3, v[228:229] offset:37248                   // 000000007388: D89A9180 0000E403
	ds_write_b64 v3, v[230:231] offset:45952                   // 000000007390: D89AB380 0000E603
	ds_write_b64 v3, v[232:233] offset:39424                   // 000000007398: D89A9A00 0000E803
	ds_write_b64 v3, v[234:235] offset:48128                   // 0000000073A0: D89ABC00 0000EA03
	ds_write_b64 v3, v[236:237] offset:41600                   // 0000000073A8: D89AA280 0000EC03
	ds_write_b64 v3, v[238:239] offset:50304                   // 0000000073B0: D89AC480 0000EE03
	s_waitcnt lgkmcnt(0)                                       // 0000000073B8: BF8CC07F
	s_barrier                                                  // 0000000073BC: BF8A0000
	ds_read_b32 v64, v4 offset:35072                           // 0000000073C0: D86C8900 40000004
	ds_read_b32 v65, v4 offset:39424                           // 0000000073C8: D86C9A00 41000004
	ds_read_b32 v66, v4 offset:35104                           // 0000000073D0: D86C8920 42000004
	ds_read_b32 v67, v4 offset:39456                           // 0000000073D8: D86C9A20 43000004
	ds_read_b32 v68, v4 offset:35136                           // 0000000073E0: D86C8940 44000004
	ds_read_b32 v69, v4 offset:39488                           // 0000000073E8: D86C9A40 45000004
	ds_read_b32 v70, v4 offset:35168                           // 0000000073F0: D86C8960 46000004
	ds_read_b32 v71, v4 offset:39520                           // 0000000073F8: D86C9A60 47000004
	ds_read_b32 v72, v4 offset:43776                           // 000000007400: D86CAB00 48000004
	ds_read_b32 v73, v4 offset:48128                           // 000000007408: D86CBC00 49000004
	ds_read_b32 v74, v4 offset:43808                           // 000000007410: D86CAB20 4A000004
	ds_read_b32 v75, v4 offset:48160                           // 000000007418: D86CBC20 4B000004
	ds_read_b32 v76, v4 offset:43840                           // 000000007420: D86CAB40 4C000004
	ds_read_b32 v77, v4 offset:48192                           // 000000007428: D86CBC40 4D000004
	ds_read_b32 v78, v4 offset:43872                           // 000000007430: D86CAB60 4E000004
	ds_read_b32 v79, v4 offset:48224                           // 000000007438: D86CBC60 4F000004
	s_waitcnt lgkmcnt(0)                                       // 000000007440: BF8CC07F
	s_mov_b64 exec, s[20:21]                                   // 000000007444: BEFE0114
	global_atomic_pk_add_f16 v80, v64, s[8:9]                  // 000000007448: DD388000 00084050
	s_mov_b64 exec, s[36:37]                                   // 000000007450: BEFE0124
	s_mov_b64 exec, s[20:21]                                   // 000000007454: BEFE0114
	global_atomic_pk_add_f16 v80, v65, s[8:9] offset:256       // 000000007458: DD388100 00084150
	s_mov_b64 exec, s[36:37]                                   // 000000007460: BEFE0124
	s_mov_b64 exec, s[22:23]                                   // 000000007464: BEFE0116
	global_atomic_pk_add_f16 v82, v66, s[8:9]                  // 000000007468: DD388000 00084252
	s_mov_b64 exec, s[36:37]                                   // 000000007470: BEFE0124
	s_mov_b64 exec, s[22:23]                                   // 000000007474: BEFE0116
	global_atomic_pk_add_f16 v82, v67, s[8:9] offset:256       // 000000007478: DD388100 00084352
	s_mov_b64 exec, s[36:37]                                   // 000000007480: BEFE0124
	s_mov_b64 exec, s[24:25]                                   // 000000007484: BEFE0118
	global_atomic_pk_add_f16 v84, v68, s[8:9]                  // 000000007488: DD388000 00084454
	s_mov_b64 exec, s[36:37]                                   // 000000007490: BEFE0124
	s_mov_b64 exec, s[24:25]                                   // 000000007494: BEFE0118
	global_atomic_pk_add_f16 v84, v69, s[8:9] offset:256       // 000000007498: DD388100 00084554
	s_mov_b64 exec, s[36:37]                                   // 0000000074A0: BEFE0124
	s_mov_b64 exec, s[26:27]                                   // 0000000074A4: BEFE011A
	global_atomic_pk_add_f16 v86, v70, s[8:9]                  // 0000000074A8: DD388000 00084656
	s_mov_b64 exec, s[36:37]                                   // 0000000074B0: BEFE0124
	s_mov_b64 exec, s[26:27]                                   // 0000000074B4: BEFE011A
	global_atomic_pk_add_f16 v86, v71, s[8:9] offset:256       // 0000000074B8: DD388100 00084756
	s_mov_b64 exec, s[36:37]                                   // 0000000074C0: BEFE0124
	s_mov_b64 exec, s[28:29]                                   // 0000000074C4: BEFE011C
	global_atomic_pk_add_f16 v88, v72, s[8:9]                  // 0000000074C8: DD388000 00084858
	s_mov_b64 exec, s[36:37]                                   // 0000000074D0: BEFE0124
	s_mov_b64 exec, s[28:29]                                   // 0000000074D4: BEFE011C
	global_atomic_pk_add_f16 v88, v73, s[8:9] offset:256       // 0000000074D8: DD388100 00084958
	s_mov_b64 exec, s[36:37]                                   // 0000000074E0: BEFE0124
	s_mov_b64 exec, s[30:31]                                   // 0000000074E4: BEFE011E
	global_atomic_pk_add_f16 v90, v74, s[8:9]                  // 0000000074E8: DD388000 00084A5A
	s_mov_b64 exec, s[36:37]                                   // 0000000074F0: BEFE0124
	s_mov_b64 exec, s[30:31]                                   // 0000000074F4: BEFE011E
	global_atomic_pk_add_f16 v90, v75, s[8:9] offset:256       // 0000000074F8: DD388100 00084B5A
	s_mov_b64 exec, s[36:37]                                   // 000000007500: BEFE0124
	s_mov_b64 exec, s[32:33]                                   // 000000007504: BEFE0120
	global_atomic_pk_add_f16 v92, v76, s[8:9]                  // 000000007508: DD388000 00084C5C
	s_mov_b64 exec, s[36:37]                                   // 000000007510: BEFE0124
	s_mov_b64 exec, s[32:33]                                   // 000000007514: BEFE0120
	global_atomic_pk_add_f16 v92, v77, s[8:9] offset:256       // 000000007518: DD388100 00084D5C
	s_mov_b64 exec, s[36:37]                                   // 000000007520: BEFE0124
	s_mov_b64 exec, s[34:35]                                   // 000000007524: BEFE0122
	global_atomic_pk_add_f16 v94, v78, s[8:9]                  // 000000007528: DD388000 00084E5E
	s_mov_b64 exec, s[36:37]                                   // 000000007530: BEFE0124
	s_mov_b64 exec, s[34:35]                                   // 000000007534: BEFE0122
	global_atomic_pk_add_f16 v94, v79, s[8:9] offset:256       // 000000007538: DD388100 00084F5E
	s_mov_b64 exec, s[36:37]                                   // 000000007540: BEFE0124
	s_add_u32 s8, s59, s8                                      // 000000007544: 8008083B
	s_addc_u32 s9, 0, s9                                       // 000000007548: 82090980
	s_addk_i32 s80, 0x100                                      // 00000000754C: B7500100
	s_cmp_lt_i32 s80, s81                                      // 000000007550: BF045150
	s_cbranch_scc0 label_11D7                                  // 000000007554: BF840001
	s_branch label_0CA0                                        // 000000007558: BF82FAC9

000000000000755c <label_11D7>:
	s_nop 0                                                    // 00000000755C: BF800000
	s_nop 0                                                    // 000000007560: BF800000
	s_branch label_20BB                                        // 000000007564: BF820EE1

0000000000007568 <label_11DA>:
	s_waitcnt vmcnt(24) lgkmcnt(0)                             // 000000007568: BF8C4078
	s_barrier                                                  // 00000000756C: BF8A0000
	v_mfma_i32_16x16x32_i8 v[128:131], a[0:1], v[192:193], v[128:131]// 000000007570: D3D70080 0E038100
	buffer_load_dwordx4 a[128:131], v34, s[24:27], 0 offen     // 000000007578: E05C1000 80868022
	v_mfma_i32_16x16x32_i8 v[128:131], a[2:3], v[194:195], v[128:131]// 000000007580: D3D70080 0E038502
	v_mfma_i32_16x16x32_i8 v[128:131], a[4:5], v[196:197], v[128:131]// 000000007588: D3D70080 0E038904
	buffer_load_dword v26, s[20:23], 0 offen lds               // 000000007590: E0511000 8005001A
	s_add_u32 m0, 0x100, s50                                   // 000000007598: 807C32FF 00000100
	v_mfma_i32_16x16x32_i8 v[128:131], a[6:7], v[198:199], v[128:131]// 0000000075A0: D3D70080 0E038D06
	v_mfma_i32_16x16x32_i8 v[128:131], a[8:9], v[200:201], v[128:131]// 0000000075A8: D3D70080 0E039108
	buffer_load_dwordx4 a[132:135], v34, s[24:27], 0 offen offset:1024// 0000000075B0: E05C1400 80868422
	v_mfma_i32_16x16x32_i8 v[128:131], a[10:11], v[202:203], v[128:131]// 0000000075B8: D3D70080 0E03950A
	v_mfma_i32_16x16x32_i8 v[128:131], a[12:13], v[204:205], v[128:131]// 0000000075C0: D3D70080 0E03990C
	buffer_load_dword v27, s[20:23], 0 offen lds               // 0000000075C8: E0511000 8005001B
	s_add_u32 m0, 0x200, s50                                   // 0000000075D0: 807C32FF 00000200
	v_mfma_i32_16x16x32_i8 v[128:131], a[14:15], v[206:207], v[128:131]// 0000000075D8: D3D70080 0E039D0E
	v_mfma_i32_16x16x32_i8 v[132:135], a[0:1], v[208:209], v[132:135]// 0000000075E0: D3D70084 0E13A100
	buffer_load_dwordx4 a[136:139], v34, s[24:27], 0 offen offset:2048// 0000000075E8: E05C1800 80868822
	v_mfma_i32_16x16x32_i8 v[132:135], a[2:3], v[210:211], v[132:135]// 0000000075F0: D3D70084 0E13A502
	v_mfma_i32_16x16x32_i8 v[132:135], a[4:5], v[212:213], v[132:135]// 0000000075F8: D3D70084 0E13A904
	buffer_load_dword v28, s[20:23], 0 offen lds               // 000000007600: E0511000 8005001C
	s_add_u32 m0, 0x300, s50                                   // 000000007608: 807C32FF 00000300
	v_mfma_i32_16x16x32_i8 v[132:135], a[6:7], v[214:215], v[132:135]// 000000007610: D3D70084 0E13AD06
	v_mfma_i32_16x16x32_i8 v[132:135], a[8:9], v[216:217], v[132:135]// 000000007618: D3D70084 0E13B108
	buffer_load_dwordx4 a[140:143], v34, s[24:27], 0 offen offset:3072// 000000007620: E05C1C00 80868C22
	v_mfma_i32_16x16x32_i8 v[132:135], a[10:11], v[218:219], v[132:135]// 000000007628: D3D70084 0E13B50A
	v_mfma_i32_16x16x32_i8 v[132:135], a[12:13], v[220:221], v[132:135]// 000000007630: D3D70084 0E13B90C
	buffer_load_dword v29, s[20:23], 0 offen lds               // 000000007638: E0511000 8005001D
	s_add_u32 m0, 0x400, s50                                   // 000000007640: 807C32FF 00000400
	v_mfma_i32_16x16x32_i8 v[132:135], a[14:15], v[222:223], v[132:135]// 000000007648: D3D70084 0E13BD0E
	v_mfma_i32_16x16x32_i8 v[136:139], a[16:17], v[192:193], v[136:139]// 000000007650: D3D70088 0E238110
	buffer_load_dwordx4 a[144:147], v35, s[24:27], 0 offen     // 000000007658: E05C1000 80869023
	v_mfma_i32_16x16x32_i8 v[136:139], a[18:19], v[194:195], v[136:139]// 000000007660: D3D70088 0E238512
	v_mfma_i32_16x16x32_i8 v[136:139], a[20:21], v[196:197], v[136:139]// 000000007668: D3D70088 0E238914
	buffer_load_dword v30, s[20:23], 0 offen lds               // 000000007670: E0511000 8005001E
	s_add_u32 m0, 0x500, s50                                   // 000000007678: 807C32FF 00000500
	v_mfma_i32_16x16x32_i8 v[136:139], a[22:23], v[198:199], v[136:139]// 000000007680: D3D70088 0E238D16
	v_mfma_i32_16x16x32_i8 v[136:139], a[24:25], v[200:201], v[136:139]// 000000007688: D3D70088 0E239118
	buffer_load_dwordx4 a[148:151], v35, s[24:27], 0 offen offset:1024// 000000007690: E05C1400 80869423
	v_mfma_i32_16x16x32_i8 v[136:139], a[26:27], v[202:203], v[136:139]// 000000007698: D3D70088 0E23951A
	v_mfma_i32_16x16x32_i8 v[136:139], a[28:29], v[204:205], v[136:139]// 0000000076A0: D3D70088 0E23991C
	buffer_load_dword v31, s[20:23], 0 offen lds               // 0000000076A8: E0511000 8005001F
	s_add_u32 m0, 0x600, s50                                   // 0000000076B0: 807C32FF 00000600
	v_mfma_i32_16x16x32_i8 v[136:139], a[30:31], v[206:207], v[136:139]// 0000000076B8: D3D70088 0E239D1E
	v_mfma_i32_16x16x32_i8 v[140:143], a[16:17], v[208:209], v[140:143]// 0000000076C0: D3D7008C 0E33A110
	buffer_load_dwordx4 a[152:155], v35, s[24:27], 0 offen offset:2048// 0000000076C8: E05C1800 80869823
	v_mfma_i32_16x16x32_i8 v[140:143], a[18:19], v[210:211], v[140:143]// 0000000076D0: D3D7008C 0E33A512
	v_mfma_i32_16x16x32_i8 v[140:143], a[20:21], v[212:213], v[140:143]// 0000000076D8: D3D7008C 0E33A914
	buffer_load_dword v32, s[20:23], 0 offen lds               // 0000000076E0: E0511000 80050020
	s_add_u32 m0, 0x700, s50                                   // 0000000076E8: 807C32FF 00000700
	v_mfma_i32_16x16x32_i8 v[140:143], a[22:23], v[214:215], v[140:143]// 0000000076F0: D3D7008C 0E33AD16
	v_mfma_i32_16x16x32_i8 v[140:143], a[24:25], v[216:217], v[140:143]// 0000000076F8: D3D7008C 0E33B118
	buffer_load_dwordx4 a[156:159], v35, s[24:27], 0 offen offset:3072// 000000007700: E05C1C00 80869C23
	v_mfma_i32_16x16x32_i8 v[140:143], a[26:27], v[218:219], v[140:143]// 000000007708: D3D7008C 0E33B51A
	v_mfma_i32_16x16x32_i8 v[140:143], a[28:29], v[220:221], v[140:143]// 000000007710: D3D7008C 0E33B91C
	buffer_load_dword v33, s[20:23], 0 offen lds               // 000000007718: E0511000 80050021
	s_add_u32 m0, 0, s51                                       // 000000007720: 807C3380
	v_mfma_i32_16x16x32_i8 v[140:143], a[30:31], v[222:223], v[140:143]// 000000007724: D3D7008C 0E33BD1E
	s_waitcnt vmcnt(36)                                        // 00000000772C: BF8C8F74
	v_mfma_i32_16x16x32_i8 v[144:147], a[32:33], v[192:193], v[144:147]// 000000007730: D3D70090 0E438120
	buffer_load_dwordx4 a[160:163], v36, s[24:27], 0 offen     // 000000007738: E05C1000 8086A024
	v_mfma_i32_16x16x32_i8 v[144:147], a[34:35], v[194:195], v[144:147]// 000000007740: D3D70090 0E438522
	v_mfma_i32_16x16x32_i8 v[144:147], a[36:37], v[196:197], v[144:147]// 000000007748: D3D70090 0E438924
	ds_read_b128 v[224:227], v2 offset:8320                    // 000000007750: D9FE2080 E0000002
	v_mfma_i32_16x16x32_i8 v[144:147], a[38:39], v[198:199], v[144:147]// 000000007758: D3D70090 0E438D26
	v_mfma_i32_16x16x32_i8 v[144:147], a[40:41], v[200:201], v[144:147]// 000000007760: D3D70090 0E439128
	buffer_load_dwordx4 a[164:167], v36, s[24:27], 0 offen offset:1024// 000000007768: E05C1400 8086A424
	v_mfma_i32_16x16x32_i8 v[144:147], a[42:43], v[202:203], v[144:147]// 000000007770: D3D70090 0E43952A
	v_mfma_i32_16x16x32_i8 v[144:147], a[44:45], v[204:205], v[144:147]// 000000007778: D3D70090 0E43992C
	ds_read_b128 v[228:231], v2 offset:8384                    // 000000007780: D9FE20C0 E4000002
	v_mfma_i32_16x16x32_i8 v[144:147], a[46:47], v[206:207], v[144:147]// 000000007788: D3D70090 0E439D2E
	v_mfma_i32_16x16x32_i8 v[148:151], a[32:33], v[208:209], v[148:151]// 000000007790: D3D70094 0E53A120
	buffer_load_dwordx4 a[168:171], v36, s[24:27], 0 offen offset:2048// 000000007798: E05C1800 8086A824
	v_mfma_i32_16x16x32_i8 v[148:151], a[34:35], v[210:211], v[148:151]// 0000000077A0: D3D70094 0E53A522
	v_mfma_i32_16x16x32_i8 v[148:151], a[36:37], v[212:213], v[148:151]// 0000000077A8: D3D70094 0E53A924
	ds_read_b128 v[232:235], v2 offset:8448                    // 0000000077B0: D9FE2100 E8000002
	v_mfma_i32_16x16x32_i8 v[148:151], a[38:39], v[214:215], v[148:151]// 0000000077B8: D3D70094 0E53AD26
	v_mfma_i32_16x16x32_i8 v[148:151], a[40:41], v[216:217], v[148:151]// 0000000077C0: D3D70094 0E53B128
	buffer_load_dwordx4 a[172:175], v36, s[24:27], 0 offen offset:3072// 0000000077C8: E05C1C00 8086AC24
	v_mfma_i32_16x16x32_i8 v[148:151], a[42:43], v[218:219], v[148:151]// 0000000077D0: D3D70094 0E53B52A
	v_mfma_i32_16x16x32_i8 v[148:151], a[44:45], v[220:221], v[148:151]// 0000000077D8: D3D70094 0E53B92C
	ds_read_b128 v[236:239], v2 offset:8512                    // 0000000077E0: D9FE2140 EC000002
	v_mfma_i32_16x16x32_i8 v[148:151], a[46:47], v[222:223], v[148:151]// 0000000077E8: D3D70094 0E53BD2E
	s_waitcnt vmcnt(36)                                        // 0000000077F0: BF8C8F74
	v_mfma_i32_16x16x32_i8 v[152:155], a[48:49], v[192:193], v[152:155]// 0000000077F4: D3D70098 0E638130
	buffer_load_dwordx4 a[176:179], v37, s[24:27], 0 offen     // 0000000077FC: E05C1000 8086B025
	v_mfma_i32_16x16x32_i8 v[152:155], a[50:51], v[194:195], v[152:155]// 000000007804: D3D70098 0E638532
	v_mfma_i32_16x16x32_i8 v[152:155], a[52:53], v[196:197], v[152:155]// 00000000780C: D3D70098 0E638934
	ds_read_b128 v[240:243], v2 offset:9344                    // 000000007814: D9FE2480 F0000002
	v_mfma_i32_16x16x32_i8 v[152:155], a[54:55], v[198:199], v[152:155]// 00000000781C: D3D70098 0E638D36
	v_mfma_i32_16x16x32_i8 v[152:155], a[56:57], v[200:201], v[152:155]// 000000007824: D3D70098 0E639138
	buffer_load_dwordx4 a[180:183], v37, s[24:27], 0 offen offset:1024// 00000000782C: E05C1400 8086B425
	v_mfma_i32_16x16x32_i8 v[152:155], a[58:59], v[202:203], v[152:155]// 000000007834: D3D70098 0E63953A
	v_mfma_i32_16x16x32_i8 v[152:155], a[60:61], v[204:205], v[152:155]// 00000000783C: D3D70098 0E63993C
	ds_read_b128 v[244:247], v2 offset:9408                    // 000000007844: D9FE24C0 F4000002
	v_mfma_i32_16x16x32_i8 v[152:155], a[62:63], v[206:207], v[152:155]// 00000000784C: D3D70098 0E639D3E
	v_mfma_i32_16x16x32_i8 v[156:159], a[48:49], v[208:209], v[156:159]// 000000007854: D3D7009C 0E73A130
	buffer_load_dwordx4 a[184:187], v37, s[24:27], 0 offen offset:2048// 00000000785C: E05C1800 8086B825
	v_mfma_i32_16x16x32_i8 v[156:159], a[50:51], v[210:211], v[156:159]// 000000007864: D3D7009C 0E73A532
	v_mfma_i32_16x16x32_i8 v[156:159], a[52:53], v[212:213], v[156:159]// 00000000786C: D3D7009C 0E73A934
	ds_read_b128 v[248:251], v2 offset:9472                    // 000000007874: D9FE2500 F8000002
	v_mfma_i32_16x16x32_i8 v[156:159], a[54:55], v[214:215], v[156:159]// 00000000787C: D3D7009C 0E73AD36
	v_mfma_i32_16x16x32_i8 v[156:159], a[56:57], v[216:217], v[156:159]// 000000007884: D3D7009C 0E73B138
	buffer_load_dwordx4 a[188:191], v37, s[24:27], 0 offen offset:3072// 00000000788C: E05C1C00 8086BC25
	v_mfma_i32_16x16x32_i8 v[156:159], a[58:59], v[218:219], v[156:159]// 000000007894: D3D7009C 0E73B53A
	v_mfma_i32_16x16x32_i8 v[156:159], a[60:61], v[220:221], v[156:159]// 00000000789C: D3D7009C 0E73B93C
	ds_read_b128 v[252:255], v2 offset:9536                    // 0000000078A4: D9FE2540 FC000002
	v_mfma_i32_16x16x32_i8 v[156:159], a[62:63], v[222:223], v[156:159]// 0000000078AC: D3D7009C 0E73BD3E
	s_waitcnt vmcnt(36)                                        // 0000000078B4: BF8C8F74
	v_mfma_i32_16x16x32_i8 v[160:163], a[64:65], v[192:193], v[160:163]// 0000000078B8: D3D700A0 0E838140
	buffer_load_dwordx4 a[192:195], v38, s[24:27], 0 offen     // 0000000078C0: E05C1000 8086C026
	v_mfma_i32_16x16x32_i8 v[160:163], a[66:67], v[194:195], v[160:163]// 0000000078C8: D3D700A0 0E838542
	v_mfma_i32_16x16x32_i8 v[160:163], a[68:69], v[196:197], v[160:163]// 0000000078D0: D3D700A0 0E838944
	v_mfma_i32_16x16x32_i8 v[160:163], a[70:71], v[198:199], v[160:163]// 0000000078D8: D3D700A0 0E838D46
	v_mfma_i32_16x16x32_i8 v[160:163], a[72:73], v[200:201], v[160:163]// 0000000078E0: D3D700A0 0E839148
	buffer_load_dwordx4 a[196:199], v38, s[24:27], 0 offen offset:1024// 0000000078E8: E05C1400 8086C426
	v_mfma_i32_16x16x32_i8 v[160:163], a[74:75], v[202:203], v[160:163]// 0000000078F0: D3D700A0 0E83954A
	v_mfma_i32_16x16x32_i8 v[160:163], a[76:77], v[204:205], v[160:163]// 0000000078F8: D3D700A0 0E83994C
	v_mfma_i32_16x16x32_i8 v[160:163], a[78:79], v[206:207], v[160:163]// 000000007900: D3D700A0 0E839D4E
	v_mfma_i32_16x16x32_i8 v[164:167], a[64:65], v[208:209], v[164:167]// 000000007908: D3D700A4 0E93A140
	buffer_load_dwordx4 a[200:203], v38, s[24:27], 0 offen offset:2048// 000000007910: E05C1800 8086C826
	v_mfma_i32_16x16x32_i8 v[164:167], a[66:67], v[210:211], v[164:167]// 000000007918: D3D700A4 0E93A542
	v_mfma_i32_16x16x32_i8 v[164:167], a[68:69], v[212:213], v[164:167]// 000000007920: D3D700A4 0E93A944
	v_mfma_i32_16x16x32_i8 v[164:167], a[70:71], v[214:215], v[164:167]// 000000007928: D3D700A4 0E93AD46
	v_mfma_i32_16x16x32_i8 v[164:167], a[72:73], v[216:217], v[164:167]// 000000007930: D3D700A4 0E93B148
	buffer_load_dwordx4 a[204:207], v38, s[24:27], 0 offen offset:3072// 000000007938: E05C1C00 8086CC26
	v_mfma_i32_16x16x32_i8 v[164:167], a[74:75], v[218:219], v[164:167]// 000000007940: D3D700A4 0E93B54A
	v_mfma_i32_16x16x32_i8 v[164:167], a[76:77], v[220:221], v[164:167]// 000000007948: D3D700A4 0E93B94C
	v_mfma_i32_16x16x32_i8 v[164:167], a[78:79], v[222:223], v[164:167]// 000000007950: D3D700A4 0E93BD4E
	s_waitcnt vmcnt(36)                                        // 000000007958: BF8C8F74
	v_mfma_i32_16x16x32_i8 v[168:171], a[80:81], v[192:193], v[168:171]// 00000000795C: D3D700A8 0EA38150
	buffer_load_dwordx4 a[208:211], v39, s[24:27], 0 offen     // 000000007964: E05C1000 8086D027
	v_mfma_i32_16x16x32_i8 v[168:171], a[82:83], v[194:195], v[168:171]// 00000000796C: D3D700A8 0EA38552
	v_mfma_i32_16x16x32_i8 v[168:171], a[84:85], v[196:197], v[168:171]// 000000007974: D3D700A8 0EA38954
	v_mfma_i32_16x16x32_i8 v[168:171], a[86:87], v[198:199], v[168:171]// 00000000797C: D3D700A8 0EA38D56
	v_mfma_i32_16x16x32_i8 v[168:171], a[88:89], v[200:201], v[168:171]// 000000007984: D3D700A8 0EA39158
	buffer_load_dwordx4 a[212:215], v39, s[24:27], 0 offen offset:1024// 00000000798C: E05C1400 8086D427
	v_mfma_i32_16x16x32_i8 v[168:171], a[90:91], v[202:203], v[168:171]// 000000007994: D3D700A8 0EA3955A
	v_mfma_i32_16x16x32_i8 v[168:171], a[92:93], v[204:205], v[168:171]// 00000000799C: D3D700A8 0EA3995C
	v_mfma_i32_16x16x32_i8 v[168:171], a[94:95], v[206:207], v[168:171]// 0000000079A4: D3D700A8 0EA39D5E
	v_mfma_i32_16x16x32_i8 v[172:175], a[80:81], v[208:209], v[172:175]// 0000000079AC: D3D700AC 0EB3A150
	buffer_load_dwordx4 a[216:219], v39, s[24:27], 0 offen offset:2048// 0000000079B4: E05C1800 8086D827
	v_mfma_i32_16x16x32_i8 v[172:175], a[82:83], v[210:211], v[172:175]// 0000000079BC: D3D700AC 0EB3A552
	v_mfma_i32_16x16x32_i8 v[172:175], a[84:85], v[212:213], v[172:175]// 0000000079C4: D3D700AC 0EB3A954
	v_mfma_i32_16x16x32_i8 v[172:175], a[86:87], v[214:215], v[172:175]// 0000000079CC: D3D700AC 0EB3AD56
	v_mfma_i32_16x16x32_i8 v[172:175], a[88:89], v[216:217], v[172:175]// 0000000079D4: D3D700AC 0EB3B158
	buffer_load_dwordx4 a[220:223], v39, s[24:27], 0 offen offset:3072// 0000000079DC: E05C1C00 8086DC27
	v_mfma_i32_16x16x32_i8 v[172:175], a[90:91], v[218:219], v[172:175]// 0000000079E4: D3D700AC 0EB3B55A
	v_mfma_i32_16x16x32_i8 v[172:175], a[92:93], v[220:221], v[172:175]// 0000000079EC: D3D700AC 0EB3B95C
	v_mfma_i32_16x16x32_i8 v[172:175], a[94:95], v[222:223], v[172:175]// 0000000079F4: D3D700AC 0EB3BD5E
	s_waitcnt vmcnt(36)                                        // 0000000079FC: BF8C8F74
	v_mfma_i32_16x16x32_i8 v[176:179], a[96:97], v[192:193], v[176:179]// 000000007A00: D3D700B0 0EC38160
	buffer_load_dwordx4 a[224:227], v40, s[24:27], 0 offen     // 000000007A08: E05C1000 8086E028
	v_mfma_i32_16x16x32_i8 v[176:179], a[98:99], v[194:195], v[176:179]// 000000007A10: D3D700B0 0EC38562
	v_mfma_i32_16x16x32_i8 v[176:179], a[100:101], v[196:197], v[176:179]// 000000007A18: D3D700B0 0EC38964
	v_mfma_i32_16x16x32_i8 v[176:179], a[102:103], v[198:199], v[176:179]// 000000007A20: D3D700B0 0EC38D66
	v_mfma_i32_16x16x32_i8 v[176:179], a[104:105], v[200:201], v[176:179]// 000000007A28: D3D700B0 0EC39168
	buffer_load_dwordx4 a[228:231], v40, s[24:27], 0 offen offset:1024// 000000007A30: E05C1400 8086E428
	v_mfma_i32_16x16x32_i8 v[176:179], a[106:107], v[202:203], v[176:179]// 000000007A38: D3D700B0 0EC3956A
	v_mfma_i32_16x16x32_i8 v[176:179], a[108:109], v[204:205], v[176:179]// 000000007A40: D3D700B0 0EC3996C
	v_mfma_i32_16x16x32_i8 v[176:179], a[110:111], v[206:207], v[176:179]// 000000007A48: D3D700B0 0EC39D6E
	v_mfma_i32_16x16x32_i8 v[180:183], a[96:97], v[208:209], v[180:183]// 000000007A50: D3D700B4 0ED3A160
	buffer_load_dwordx4 a[232:235], v40, s[24:27], 0 offen offset:2048// 000000007A58: E05C1800 8086E828
	v_mfma_i32_16x16x32_i8 v[180:183], a[98:99], v[210:211], v[180:183]// 000000007A60: D3D700B4 0ED3A562
	v_mfma_i32_16x16x32_i8 v[180:183], a[100:101], v[212:213], v[180:183]// 000000007A68: D3D700B4 0ED3A964
	v_mfma_i32_16x16x32_i8 v[180:183], a[102:103], v[214:215], v[180:183]// 000000007A70: D3D700B4 0ED3AD66
	v_mfma_i32_16x16x32_i8 v[180:183], a[104:105], v[216:217], v[180:183]// 000000007A78: D3D700B4 0ED3B168
	buffer_load_dwordx4 a[236:239], v40, s[24:27], 0 offen offset:3072// 000000007A80: E05C1C00 8086EC28
	v_mfma_i32_16x16x32_i8 v[180:183], a[106:107], v[218:219], v[180:183]// 000000007A88: D3D700B4 0ED3B56A
	v_mfma_i32_16x16x32_i8 v[180:183], a[108:109], v[220:221], v[180:183]// 000000007A90: D3D700B4 0ED3B96C
	v_mfma_i32_16x16x32_i8 v[180:183], a[110:111], v[222:223], v[180:183]// 000000007A98: D3D700B4 0ED3BD6E
	s_waitcnt vmcnt(36)                                        // 000000007AA0: BF8C8F74
	v_mfma_i32_16x16x32_i8 v[184:187], a[112:113], v[192:193], v[184:187]// 000000007AA4: D3D700B8 0EE38170
	buffer_load_dwordx4 a[240:243], v41, s[24:27], 0 offen     // 000000007AAC: E05C1000 8086F029
	v_mfma_i32_16x16x32_i8 v[184:187], a[114:115], v[194:195], v[184:187]// 000000007AB4: D3D700B8 0EE38572
	v_mfma_i32_16x16x32_i8 v[184:187], a[116:117], v[196:197], v[184:187]// 000000007ABC: D3D700B8 0EE38974
	v_mfma_i32_16x16x32_i8 v[184:187], a[118:119], v[198:199], v[184:187]// 000000007AC4: D3D700B8 0EE38D76
	v_mfma_i32_16x16x32_i8 v[184:187], a[120:121], v[200:201], v[184:187]// 000000007ACC: D3D700B8 0EE39178
	buffer_load_dwordx4 a[244:247], v41, s[24:27], 0 offen offset:1024// 000000007AD4: E05C1400 8086F429
	v_mfma_i32_16x16x32_i8 v[184:187], a[122:123], v[202:203], v[184:187]// 000000007ADC: D3D700B8 0EE3957A
	v_mfma_i32_16x16x32_i8 v[184:187], a[124:125], v[204:205], v[184:187]// 000000007AE4: D3D700B8 0EE3997C
	v_mfma_i32_16x16x32_i8 v[184:187], a[126:127], v[206:207], v[184:187]// 000000007AEC: D3D700B8 0EE39D7E
	v_mfma_i32_16x16x32_i8 v[188:191], a[112:113], v[208:209], v[188:191]// 000000007AF4: D3D700BC 0EF3A170
	buffer_load_dwordx4 a[248:251], v41, s[24:27], 0 offen offset:2048// 000000007AFC: E05C1800 8086F829
	v_mfma_i32_16x16x32_i8 v[188:191], a[114:115], v[210:211], v[188:191]// 000000007B04: D3D700BC 0EF3A572
	v_mfma_i32_16x16x32_i8 v[188:191], a[116:117], v[212:213], v[188:191]// 000000007B0C: D3D700BC 0EF3A974
	v_mfma_i32_16x16x32_i8 v[188:191], a[118:119], v[214:215], v[188:191]// 000000007B14: D3D700BC 0EF3AD76
	v_mfma_i32_16x16x32_i8 v[188:191], a[120:121], v[216:217], v[188:191]// 000000007B1C: D3D700BC 0EF3B178
	buffer_load_dwordx4 a[252:255], v41, s[24:27], 0 offen offset:3072// 000000007B24: E05C1C00 8086FC29
	v_mfma_i32_16x16x32_i8 v[188:191], a[122:123], v[218:219], v[188:191]// 000000007B2C: D3D700BC 0EF3B57A
	v_mfma_i32_16x16x32_i8 v[188:191], a[124:125], v[220:221], v[188:191]// 000000007B34: D3D700BC 0EF3B97C
	v_mfma_i32_16x16x32_i8 v[188:191], a[126:127], v[222:223], v[188:191]// 000000007B3C: D3D700BC 0EF3BD7E
	s_add_u32 s60, 0x300, s80                                  // 000000007B44: 803C50FF 00000300
	s_cmp_lt_u32 s60, s81                                      // 000000007B4C: BF0A513C
	s_cselect_b32 s57, s57, 0                                  // 000000007B50: 85398039
	s_add_u32 s60, 0x200, s80                                  // 000000007B54: 803C50FF 00000200
	s_cmp_lt_u32 s60, s81                                      // 000000007B5C: BF0A513C
	s_cselect_b32 s58, s58, 0                                  // 000000007B60: 853A803A
	s_add_u32 s20, s57, s20                                    // 000000007B64: 80141439
	s_addc_u32 s21, 0, s21                                     // 000000007B68: 82151580
	s_add_u32 s24, s58, s24                                    // 000000007B6C: 8018183A
	s_addc_u32 s25, 0, s25                                     // 000000007B70: 82191980
	s_addk_i32 s80, 0x100                                      // 000000007B74: B7500100
	s_cmp_lt_i32 s80, s81                                      // 000000007B78: BF045150
	s_cbranch_scc0 label_14E7                                  // 000000007B7C: BF840187
	s_waitcnt vmcnt(24) lgkmcnt(0)                             // 000000007B80: BF8C4078
	s_barrier                                                  // 000000007B84: BF8A0000
	v_mfma_i32_16x16x32_i8 v[128:131], a[128:129], v[224:225], v[128:131]// 000000007B88: D3D70080 0E03C180
	buffer_load_dwordx4 a[0:3], v34, s[24:27], 0 offen         // 000000007B90: E05C1000 80860022
	v_mfma_i32_16x16x32_i8 v[128:131], a[130:131], v[226:227], v[128:131]// 000000007B98: D3D70080 0E03C582
	v_mfma_i32_16x16x32_i8 v[128:131], a[132:133], v[228:229], v[128:131]// 000000007BA0: D3D70080 0E03C984
	buffer_load_dword v26, s[20:23], 0 offen lds               // 000000007BA8: E0511000 8005001A
	s_add_u32 m0, 0x100, s51                                   // 000000007BB0: 807C33FF 00000100
	v_mfma_i32_16x16x32_i8 v[128:131], a[134:135], v[230:231], v[128:131]// 000000007BB8: D3D70080 0E03CD86
	v_mfma_i32_16x16x32_i8 v[128:131], a[136:137], v[232:233], v[128:131]// 000000007BC0: D3D70080 0E03D188
	buffer_load_dwordx4 a[4:7], v34, s[24:27], 0 offen offset:1024// 000000007BC8: E05C1400 80860422
	v_mfma_i32_16x16x32_i8 v[128:131], a[138:139], v[234:235], v[128:131]// 000000007BD0: D3D70080 0E03D58A
	v_mfma_i32_16x16x32_i8 v[128:131], a[140:141], v[236:237], v[128:131]// 000000007BD8: D3D70080 0E03D98C
	buffer_load_dword v27, s[20:23], 0 offen lds               // 000000007BE0: E0511000 8005001B
	s_add_u32 m0, 0x200, s51                                   // 000000007BE8: 807C33FF 00000200
	v_mfma_i32_16x16x32_i8 v[128:131], a[142:143], v[238:239], v[128:131]// 000000007BF0: D3D70080 0E03DD8E
	v_mfma_i32_16x16x32_i8 v[132:135], a[128:129], v[240:241], v[132:135]// 000000007BF8: D3D70084 0E13E180
	buffer_load_dwordx4 a[8:11], v34, s[24:27], 0 offen offset:2048// 000000007C00: E05C1800 80860822
	v_mfma_i32_16x16x32_i8 v[132:135], a[130:131], v[242:243], v[132:135]// 000000007C08: D3D70084 0E13E582
	v_mfma_i32_16x16x32_i8 v[132:135], a[132:133], v[244:245], v[132:135]// 000000007C10: D3D70084 0E13E984
	buffer_load_dword v28, s[20:23], 0 offen lds               // 000000007C18: E0511000 8005001C
	s_add_u32 m0, 0x300, s51                                   // 000000007C20: 807C33FF 00000300
	v_mfma_i32_16x16x32_i8 v[132:135], a[134:135], v[246:247], v[132:135]// 000000007C28: D3D70084 0E13ED86
	v_mfma_i32_16x16x32_i8 v[132:135], a[136:137], v[248:249], v[132:135]// 000000007C30: D3D70084 0E13F188
	buffer_load_dwordx4 a[12:15], v34, s[24:27], 0 offen offset:3072// 000000007C38: E05C1C00 80860C22
	v_mfma_i32_16x16x32_i8 v[132:135], a[138:139], v[250:251], v[132:135]// 000000007C40: D3D70084 0E13F58A
	v_mfma_i32_16x16x32_i8 v[132:135], a[140:141], v[252:253], v[132:135]// 000000007C48: D3D70084 0E13F98C
	buffer_load_dword v29, s[20:23], 0 offen lds               // 000000007C50: E0511000 8005001D
	s_add_u32 m0, 0x400, s51                                   // 000000007C58: 807C33FF 00000400
	v_mfma_i32_16x16x32_i8 v[132:135], a[142:143], v[254:255], v[132:135]// 000000007C60: D3D70084 0E13FD8E
	v_mfma_i32_16x16x32_i8 v[136:139], a[144:145], v[224:225], v[136:139]// 000000007C68: D3D70088 0E23C190
	buffer_load_dwordx4 a[16:19], v35, s[24:27], 0 offen       // 000000007C70: E05C1000 80861023
	v_mfma_i32_16x16x32_i8 v[136:139], a[146:147], v[226:227], v[136:139]// 000000007C78: D3D70088 0E23C592
	v_mfma_i32_16x16x32_i8 v[136:139], a[148:149], v[228:229], v[136:139]// 000000007C80: D3D70088 0E23C994
	buffer_load_dword v30, s[20:23], 0 offen lds               // 000000007C88: E0511000 8005001E
	s_add_u32 m0, 0x500, s51                                   // 000000007C90: 807C33FF 00000500
	v_mfma_i32_16x16x32_i8 v[136:139], a[150:151], v[230:231], v[136:139]// 000000007C98: D3D70088 0E23CD96
	v_mfma_i32_16x16x32_i8 v[136:139], a[152:153], v[232:233], v[136:139]// 000000007CA0: D3D70088 0E23D198
	buffer_load_dwordx4 a[20:23], v35, s[24:27], 0 offen offset:1024// 000000007CA8: E05C1400 80861423
	v_mfma_i32_16x16x32_i8 v[136:139], a[154:155], v[234:235], v[136:139]// 000000007CB0: D3D70088 0E23D59A
	v_mfma_i32_16x16x32_i8 v[136:139], a[156:157], v[236:237], v[136:139]// 000000007CB8: D3D70088 0E23D99C
	buffer_load_dword v31, s[20:23], 0 offen lds               // 000000007CC0: E0511000 8005001F
	s_add_u32 m0, 0x600, s51                                   // 000000007CC8: 807C33FF 00000600
	v_mfma_i32_16x16x32_i8 v[136:139], a[158:159], v[238:239], v[136:139]// 000000007CD0: D3D70088 0E23DD9E
	v_mfma_i32_16x16x32_i8 v[140:143], a[144:145], v[240:241], v[140:143]// 000000007CD8: D3D7008C 0E33E190
	buffer_load_dwordx4 a[24:27], v35, s[24:27], 0 offen offset:2048// 000000007CE0: E05C1800 80861823
	v_mfma_i32_16x16x32_i8 v[140:143], a[146:147], v[242:243], v[140:143]// 000000007CE8: D3D7008C 0E33E592
	v_mfma_i32_16x16x32_i8 v[140:143], a[148:149], v[244:245], v[140:143]// 000000007CF0: D3D7008C 0E33E994
	buffer_load_dword v32, s[20:23], 0 offen lds               // 000000007CF8: E0511000 80050020
	s_add_u32 m0, 0x700, s51                                   // 000000007D00: 807C33FF 00000700
	v_mfma_i32_16x16x32_i8 v[140:143], a[150:151], v[246:247], v[140:143]// 000000007D08: D3D7008C 0E33ED96
	v_mfma_i32_16x16x32_i8 v[140:143], a[152:153], v[248:249], v[140:143]// 000000007D10: D3D7008C 0E33F198
	buffer_load_dwordx4 a[28:31], v35, s[24:27], 0 offen offset:3072// 000000007D18: E05C1C00 80861C23
	v_mfma_i32_16x16x32_i8 v[140:143], a[154:155], v[250:251], v[140:143]// 000000007D20: D3D7008C 0E33F59A
	v_mfma_i32_16x16x32_i8 v[140:143], a[156:157], v[252:253], v[140:143]// 000000007D28: D3D7008C 0E33F99C
	buffer_load_dword v33, s[20:23], 0 offen lds               // 000000007D30: E0511000 80050021
	s_add_u32 m0, 0, s50                                       // 000000007D38: 807C3280
	v_mfma_i32_16x16x32_i8 v[140:143], a[158:159], v[254:255], v[140:143]// 000000007D3C: D3D7008C 0E33FD9E
	s_waitcnt vmcnt(36)                                        // 000000007D44: BF8C8F74
	v_mfma_i32_16x16x32_i8 v[144:147], a[160:161], v[224:225], v[144:147]// 000000007D48: D3D70090 0E43C1A0
	buffer_load_dwordx4 a[32:35], v36, s[24:27], 0 offen       // 000000007D50: E05C1000 80862024
	v_mfma_i32_16x16x32_i8 v[144:147], a[162:163], v[226:227], v[144:147]// 000000007D58: D3D70090 0E43C5A2
	v_mfma_i32_16x16x32_i8 v[144:147], a[164:165], v[228:229], v[144:147]// 000000007D60: D3D70090 0E43C9A4
	ds_read_b128 v[192:195], v2                                // 000000007D68: D9FE0000 C0000002
	v_mfma_i32_16x16x32_i8 v[144:147], a[166:167], v[230:231], v[144:147]// 000000007D70: D3D70090 0E43CDA6
	v_mfma_i32_16x16x32_i8 v[144:147], a[168:169], v[232:233], v[144:147]// 000000007D78: D3D70090 0E43D1A8
	buffer_load_dwordx4 a[36:39], v36, s[24:27], 0 offen offset:1024// 000000007D80: E05C1400 80862424
	v_mfma_i32_16x16x32_i8 v[144:147], a[170:171], v[234:235], v[144:147]// 000000007D88: D3D70090 0E43D5AA
	v_mfma_i32_16x16x32_i8 v[144:147], a[172:173], v[236:237], v[144:147]// 000000007D90: D3D70090 0E43D9AC
	ds_read_b128 v[196:199], v2 offset:64                      // 000000007D98: D9FE0040 C4000002
	v_mfma_i32_16x16x32_i8 v[144:147], a[174:175], v[238:239], v[144:147]// 000000007DA0: D3D70090 0E43DDAE
	v_mfma_i32_16x16x32_i8 v[148:151], a[160:161], v[240:241], v[148:151]// 000000007DA8: D3D70094 0E53E1A0
	buffer_load_dwordx4 a[40:43], v36, s[24:27], 0 offen offset:2048// 000000007DB0: E05C1800 80862824
	v_mfma_i32_16x16x32_i8 v[148:151], a[162:163], v[242:243], v[148:151]// 000000007DB8: D3D70094 0E53E5A2
	v_mfma_i32_16x16x32_i8 v[148:151], a[164:165], v[244:245], v[148:151]// 000000007DC0: D3D70094 0E53E9A4
	ds_read_b128 v[200:203], v2 offset:128                     // 000000007DC8: D9FE0080 C8000002
	v_mfma_i32_16x16x32_i8 v[148:151], a[166:167], v[246:247], v[148:151]// 000000007DD0: D3D70094 0E53EDA6
	v_mfma_i32_16x16x32_i8 v[148:151], a[168:169], v[248:249], v[148:151]// 000000007DD8: D3D70094 0E53F1A8
	buffer_load_dwordx4 a[44:47], v36, s[24:27], 0 offen offset:3072// 000000007DE0: E05C1C00 80862C24
	v_mfma_i32_16x16x32_i8 v[148:151], a[170:171], v[250:251], v[148:151]// 000000007DE8: D3D70094 0E53F5AA
	v_mfma_i32_16x16x32_i8 v[148:151], a[172:173], v[252:253], v[148:151]// 000000007DF0: D3D70094 0E53F9AC
	ds_read_b128 v[204:207], v2 offset:192                     // 000000007DF8: D9FE00C0 CC000002
	v_mfma_i32_16x16x32_i8 v[148:151], a[174:175], v[254:255], v[148:151]// 000000007E00: D3D70094 0E53FDAE
	s_waitcnt vmcnt(36)                                        // 000000007E08: BF8C8F74
	v_mfma_i32_16x16x32_i8 v[152:155], a[176:177], v[224:225], v[152:155]// 000000007E0C: D3D70098 0E63C1B0
	buffer_load_dwordx4 a[48:51], v37, s[24:27], 0 offen       // 000000007E14: E05C1000 80863025
	v_mfma_i32_16x16x32_i8 v[152:155], a[178:179], v[226:227], v[152:155]// 000000007E1C: D3D70098 0E63C5B2
	v_mfma_i32_16x16x32_i8 v[152:155], a[180:181], v[228:229], v[152:155]// 000000007E24: D3D70098 0E63C9B4
	ds_read_b128 v[208:211], v2 offset:1024                    // 000000007E2C: D9FE0400 D0000002
	v_mfma_i32_16x16x32_i8 v[152:155], a[182:183], v[230:231], v[152:155]// 000000007E34: D3D70098 0E63CDB6
	v_mfma_i32_16x16x32_i8 v[152:155], a[184:185], v[232:233], v[152:155]// 000000007E3C: D3D70098 0E63D1B8
	buffer_load_dwordx4 a[52:55], v37, s[24:27], 0 offen offset:1024// 000000007E44: E05C1400 80863425
	v_mfma_i32_16x16x32_i8 v[152:155], a[186:187], v[234:235], v[152:155]// 000000007E4C: D3D70098 0E63D5BA
	v_mfma_i32_16x16x32_i8 v[152:155], a[188:189], v[236:237], v[152:155]// 000000007E54: D3D70098 0E63D9BC
	ds_read_b128 v[212:215], v2 offset:1088                    // 000000007E5C: D9FE0440 D4000002
	v_mfma_i32_16x16x32_i8 v[152:155], a[190:191], v[238:239], v[152:155]// 000000007E64: D3D70098 0E63DDBE
	v_mfma_i32_16x16x32_i8 v[156:159], a[176:177], v[240:241], v[156:159]// 000000007E6C: D3D7009C 0E73E1B0
	buffer_load_dwordx4 a[56:59], v37, s[24:27], 0 offen offset:2048// 000000007E74: E05C1800 80863825
	v_mfma_i32_16x16x32_i8 v[156:159], a[178:179], v[242:243], v[156:159]// 000000007E7C: D3D7009C 0E73E5B2
	v_mfma_i32_16x16x32_i8 v[156:159], a[180:181], v[244:245], v[156:159]// 000000007E84: D3D7009C 0E73E9B4
	ds_read_b128 v[216:219], v2 offset:1152                    // 000000007E8C: D9FE0480 D8000002
	v_mfma_i32_16x16x32_i8 v[156:159], a[182:183], v[246:247], v[156:159]// 000000007E94: D3D7009C 0E73EDB6
	v_mfma_i32_16x16x32_i8 v[156:159], a[184:185], v[248:249], v[156:159]// 000000007E9C: D3D7009C 0E73F1B8
	buffer_load_dwordx4 a[60:63], v37, s[24:27], 0 offen offset:3072// 000000007EA4: E05C1C00 80863C25
	v_mfma_i32_16x16x32_i8 v[156:159], a[186:187], v[250:251], v[156:159]// 000000007EAC: D3D7009C 0E73F5BA
	v_mfma_i32_16x16x32_i8 v[156:159], a[188:189], v[252:253], v[156:159]// 000000007EB4: D3D7009C 0E73F9BC
	ds_read_b128 v[220:223], v2 offset:1216                    // 000000007EBC: D9FE04C0 DC000002
	v_mfma_i32_16x16x32_i8 v[156:159], a[190:191], v[254:255], v[156:159]// 000000007EC4: D3D7009C 0E73FDBE
	s_waitcnt vmcnt(36)                                        // 000000007ECC: BF8C8F74
	v_mfma_i32_16x16x32_i8 v[160:163], a[192:193], v[224:225], v[160:163]// 000000007ED0: D3D700A0 0E83C1C0
	buffer_load_dwordx4 a[64:67], v38, s[24:27], 0 offen       // 000000007ED8: E05C1000 80864026
	v_mfma_i32_16x16x32_i8 v[160:163], a[194:195], v[226:227], v[160:163]// 000000007EE0: D3D700A0 0E83C5C2
	v_mfma_i32_16x16x32_i8 v[160:163], a[196:197], v[228:229], v[160:163]// 000000007EE8: D3D700A0 0E83C9C4
	v_mfma_i32_16x16x32_i8 v[160:163], a[198:199], v[230:231], v[160:163]// 000000007EF0: D3D700A0 0E83CDC6
	v_mfma_i32_16x16x32_i8 v[160:163], a[200:201], v[232:233], v[160:163]// 000000007EF8: D3D700A0 0E83D1C8
	buffer_load_dwordx4 a[68:71], v38, s[24:27], 0 offen offset:1024// 000000007F00: E05C1400 80864426
	v_mfma_i32_16x16x32_i8 v[160:163], a[202:203], v[234:235], v[160:163]// 000000007F08: D3D700A0 0E83D5CA
	v_mfma_i32_16x16x32_i8 v[160:163], a[204:205], v[236:237], v[160:163]// 000000007F10: D3D700A0 0E83D9CC
	v_mfma_i32_16x16x32_i8 v[160:163], a[206:207], v[238:239], v[160:163]// 000000007F18: D3D700A0 0E83DDCE
	v_mfma_i32_16x16x32_i8 v[164:167], a[192:193], v[240:241], v[164:167]// 000000007F20: D3D700A4 0E93E1C0
	buffer_load_dwordx4 a[72:75], v38, s[24:27], 0 offen offset:2048// 000000007F28: E05C1800 80864826
	v_mfma_i32_16x16x32_i8 v[164:167], a[194:195], v[242:243], v[164:167]// 000000007F30: D3D700A4 0E93E5C2
	v_mfma_i32_16x16x32_i8 v[164:167], a[196:197], v[244:245], v[164:167]// 000000007F38: D3D700A4 0E93E9C4
	v_mfma_i32_16x16x32_i8 v[164:167], a[198:199], v[246:247], v[164:167]// 000000007F40: D3D700A4 0E93EDC6
	v_mfma_i32_16x16x32_i8 v[164:167], a[200:201], v[248:249], v[164:167]// 000000007F48: D3D700A4 0E93F1C8
	buffer_load_dwordx4 a[76:79], v38, s[24:27], 0 offen offset:3072// 000000007F50: E05C1C00 80864C26
	v_mfma_i32_16x16x32_i8 v[164:167], a[202:203], v[250:251], v[164:167]// 000000007F58: D3D700A4 0E93F5CA
	v_mfma_i32_16x16x32_i8 v[164:167], a[204:205], v[252:253], v[164:167]// 000000007F60: D3D700A4 0E93F9CC
	v_mfma_i32_16x16x32_i8 v[164:167], a[206:207], v[254:255], v[164:167]// 000000007F68: D3D700A4 0E93FDCE
	s_waitcnt vmcnt(36)                                        // 000000007F70: BF8C8F74
	v_mfma_i32_16x16x32_i8 v[168:171], a[208:209], v[224:225], v[168:171]// 000000007F74: D3D700A8 0EA3C1D0
	buffer_load_dwordx4 a[80:83], v39, s[24:27], 0 offen       // 000000007F7C: E05C1000 80865027
	v_mfma_i32_16x16x32_i8 v[168:171], a[210:211], v[226:227], v[168:171]// 000000007F84: D3D700A8 0EA3C5D2
	v_mfma_i32_16x16x32_i8 v[168:171], a[212:213], v[228:229], v[168:171]// 000000007F8C: D3D700A8 0EA3C9D4
	v_mfma_i32_16x16x32_i8 v[168:171], a[214:215], v[230:231], v[168:171]// 000000007F94: D3D700A8 0EA3CDD6
	v_mfma_i32_16x16x32_i8 v[168:171], a[216:217], v[232:233], v[168:171]// 000000007F9C: D3D700A8 0EA3D1D8
	buffer_load_dwordx4 a[84:87], v39, s[24:27], 0 offen offset:1024// 000000007FA4: E05C1400 80865427
	v_mfma_i32_16x16x32_i8 v[168:171], a[218:219], v[234:235], v[168:171]// 000000007FAC: D3D700A8 0EA3D5DA
	v_mfma_i32_16x16x32_i8 v[168:171], a[220:221], v[236:237], v[168:171]// 000000007FB4: D3D700A8 0EA3D9DC
	v_mfma_i32_16x16x32_i8 v[168:171], a[222:223], v[238:239], v[168:171]// 000000007FBC: D3D700A8 0EA3DDDE
	v_mfma_i32_16x16x32_i8 v[172:175], a[208:209], v[240:241], v[172:175]// 000000007FC4: D3D700AC 0EB3E1D0
	buffer_load_dwordx4 a[88:91], v39, s[24:27], 0 offen offset:2048// 000000007FCC: E05C1800 80865827
	v_mfma_i32_16x16x32_i8 v[172:175], a[210:211], v[242:243], v[172:175]// 000000007FD4: D3D700AC 0EB3E5D2
	v_mfma_i32_16x16x32_i8 v[172:175], a[212:213], v[244:245], v[172:175]// 000000007FDC: D3D700AC 0EB3E9D4
	v_mfma_i32_16x16x32_i8 v[172:175], a[214:215], v[246:247], v[172:175]// 000000007FE4: D3D700AC 0EB3EDD6
	v_mfma_i32_16x16x32_i8 v[172:175], a[216:217], v[248:249], v[172:175]// 000000007FEC: D3D700AC 0EB3F1D8
	buffer_load_dwordx4 a[92:95], v39, s[24:27], 0 offen offset:3072// 000000007FF4: E05C1C00 80865C27
	v_mfma_i32_16x16x32_i8 v[172:175], a[218:219], v[250:251], v[172:175]// 000000007FFC: D3D700AC 0EB3F5DA
	v_mfma_i32_16x16x32_i8 v[172:175], a[220:221], v[252:253], v[172:175]// 000000008004: D3D700AC 0EB3F9DC
	v_mfma_i32_16x16x32_i8 v[172:175], a[222:223], v[254:255], v[172:175]// 00000000800C: D3D700AC 0EB3FDDE
	s_waitcnt vmcnt(36)                                        // 000000008014: BF8C8F74
	v_mfma_i32_16x16x32_i8 v[176:179], a[224:225], v[224:225], v[176:179]// 000000008018: D3D700B0 0EC3C1E0
	buffer_load_dwordx4 a[96:99], v40, s[24:27], 0 offen       // 000000008020: E05C1000 80866028
	v_mfma_i32_16x16x32_i8 v[176:179], a[226:227], v[226:227], v[176:179]// 000000008028: D3D700B0 0EC3C5E2
	v_mfma_i32_16x16x32_i8 v[176:179], a[228:229], v[228:229], v[176:179]// 000000008030: D3D700B0 0EC3C9E4
	v_mfma_i32_16x16x32_i8 v[176:179], a[230:231], v[230:231], v[176:179]// 000000008038: D3D700B0 0EC3CDE6
	v_mfma_i32_16x16x32_i8 v[176:179], a[232:233], v[232:233], v[176:179]// 000000008040: D3D700B0 0EC3D1E8
	buffer_load_dwordx4 a[100:103], v40, s[24:27], 0 offen offset:1024// 000000008048: E05C1400 80866428
	v_mfma_i32_16x16x32_i8 v[176:179], a[234:235], v[234:235], v[176:179]// 000000008050: D3D700B0 0EC3D5EA
	v_mfma_i32_16x16x32_i8 v[176:179], a[236:237], v[236:237], v[176:179]// 000000008058: D3D700B0 0EC3D9EC
	v_mfma_i32_16x16x32_i8 v[176:179], a[238:239], v[238:239], v[176:179]// 000000008060: D3D700B0 0EC3DDEE
	v_mfma_i32_16x16x32_i8 v[180:183], a[224:225], v[240:241], v[180:183]// 000000008068: D3D700B4 0ED3E1E0
	buffer_load_dwordx4 a[104:107], v40, s[24:27], 0 offen offset:2048// 000000008070: E05C1800 80866828
	v_mfma_i32_16x16x32_i8 v[180:183], a[226:227], v[242:243], v[180:183]// 000000008078: D3D700B4 0ED3E5E2
	v_mfma_i32_16x16x32_i8 v[180:183], a[228:229], v[244:245], v[180:183]// 000000008080: D3D700B4 0ED3E9E4
	v_mfma_i32_16x16x32_i8 v[180:183], a[230:231], v[246:247], v[180:183]// 000000008088: D3D700B4 0ED3EDE6
	v_mfma_i32_16x16x32_i8 v[180:183], a[232:233], v[248:249], v[180:183]// 000000008090: D3D700B4 0ED3F1E8
	buffer_load_dwordx4 a[108:111], v40, s[24:27], 0 offen offset:3072// 000000008098: E05C1C00 80866C28
	v_mfma_i32_16x16x32_i8 v[180:183], a[234:235], v[250:251], v[180:183]// 0000000080A0: D3D700B4 0ED3F5EA
	v_mfma_i32_16x16x32_i8 v[180:183], a[236:237], v[252:253], v[180:183]// 0000000080A8: D3D700B4 0ED3F9EC
	v_mfma_i32_16x16x32_i8 v[180:183], a[238:239], v[254:255], v[180:183]// 0000000080B0: D3D700B4 0ED3FDEE
	s_waitcnt vmcnt(36)                                        // 0000000080B8: BF8C8F74
	v_mfma_i32_16x16x32_i8 v[184:187], a[240:241], v[224:225], v[184:187]// 0000000080BC: D3D700B8 0EE3C1F0
	buffer_load_dwordx4 a[112:115], v41, s[24:27], 0 offen     // 0000000080C4: E05C1000 80867029
	v_mfma_i32_16x16x32_i8 v[184:187], a[242:243], v[226:227], v[184:187]// 0000000080CC: D3D700B8 0EE3C5F2
	v_mfma_i32_16x16x32_i8 v[184:187], a[244:245], v[228:229], v[184:187]// 0000000080D4: D3D700B8 0EE3C9F4
	v_mfma_i32_16x16x32_i8 v[184:187], a[246:247], v[230:231], v[184:187]// 0000000080DC: D3D700B8 0EE3CDF6
	v_mfma_i32_16x16x32_i8 v[184:187], a[248:249], v[232:233], v[184:187]// 0000000080E4: D3D700B8 0EE3D1F8
	buffer_load_dwordx4 a[116:119], v41, s[24:27], 0 offen offset:1024// 0000000080EC: E05C1400 80867429
	v_mfma_i32_16x16x32_i8 v[184:187], a[250:251], v[234:235], v[184:187]// 0000000080F4: D3D700B8 0EE3D5FA
	v_mfma_i32_16x16x32_i8 v[184:187], a[252:253], v[236:237], v[184:187]// 0000000080FC: D3D700B8 0EE3D9FC
	v_mfma_i32_16x16x32_i8 v[184:187], a[254:255], v[238:239], v[184:187]// 000000008104: D3D700B8 0EE3DDFE
	v_mfma_i32_16x16x32_i8 v[188:191], a[240:241], v[240:241], v[188:191]// 00000000810C: D3D700BC 0EF3E1F0
	buffer_load_dwordx4 a[120:123], v41, s[24:27], 0 offen offset:2048// 000000008114: E05C1800 80867829
	v_mfma_i32_16x16x32_i8 v[188:191], a[242:243], v[242:243], v[188:191]// 00000000811C: D3D700BC 0EF3E5F2
	v_mfma_i32_16x16x32_i8 v[188:191], a[244:245], v[244:245], v[188:191]// 000000008124: D3D700BC 0EF3E9F4
	v_mfma_i32_16x16x32_i8 v[188:191], a[246:247], v[246:247], v[188:191]// 00000000812C: D3D700BC 0EF3EDF6
	v_mfma_i32_16x16x32_i8 v[188:191], a[248:249], v[248:249], v[188:191]// 000000008134: D3D700BC 0EF3F1F8
	buffer_load_dwordx4 a[124:127], v41, s[24:27], 0 offen offset:3072// 00000000813C: E05C1C00 80867C29
	v_mfma_i32_16x16x32_i8 v[188:191], a[250:251], v[250:251], v[188:191]// 000000008144: D3D700BC 0EF3F5FA
	v_mfma_i32_16x16x32_i8 v[188:191], a[252:253], v[252:253], v[188:191]// 00000000814C: D3D700BC 0EF3F9FC
	v_mfma_i32_16x16x32_i8 v[188:191], a[254:255], v[254:255], v[188:191]// 000000008154: D3D700BC 0EF3FDFE
	s_add_u32 s60, 0x300, s80                                  // 00000000815C: 803C50FF 00000300
	s_cmp_lt_u32 s60, s81                                      // 000000008164: BF0A513C
	s_cselect_b32 s57, s57, 0                                  // 000000008168: 85398039
	s_add_u32 s60, 0x200, s80                                  // 00000000816C: 803C50FF 00000200
	s_cmp_lt_u32 s60, s81                                      // 000000008174: BF0A513C
	s_cselect_b32 s58, s58, 0                                  // 000000008178: 853A803A
	s_add_u32 s20, s57, s20                                    // 00000000817C: 80141439
	s_addc_u32 s21, 0, s21                                     // 000000008180: 82151580
	s_add_u32 s24, s58, s24                                    // 000000008184: 8018183A
	s_addc_u32 s25, 0, s25                                     // 000000008188: 82191980
	s_addk_i32 s80, 0x100                                      // 00000000818C: B7500100
	s_cmp_lt_i32 s80, s81                                      // 000000008190: BF045150
	s_cbranch_scc0 label_14E7                                  // 000000008194: BF840001
	s_branch label_11DA                                        // 000000008198: BF82FCF3

000000000000819c <label_14E7>:
	s_mov_b32 s36, -1                                          // 00000000819C: BEA400C1
	s_mov_b32 s37, -1                                          // 0000000081A0: BEA500C1
	s_mov_b64 s[60:61], 0                                      // 0000000081A4: BEBC0180
	s_cmp_lt_u32 s82, s66                                      // 0000000081A8: BF0A4252
	s_cselect_b64 s[20:21], s[36:37], s[60:61]                 // 0000000081AC: 85943C24
	s_cmp_lt_u32 s83, s66                                      // 0000000081B0: BF0A4253
	s_cselect_b64 s[22:23], s[36:37], s[60:61]                 // 0000000081B4: 85963C24
	s_cmp_lt_u32 s84, s66                                      // 0000000081B8: BF0A4254
	s_cselect_b64 s[24:25], s[36:37], s[60:61]                 // 0000000081BC: 85983C24
	s_cmp_lt_u32 s85, s66                                      // 0000000081C0: BF0A4255
	s_cselect_b64 s[26:27], s[36:37], s[60:61]                 // 0000000081C4: 859A3C24
	s_cmp_lt_u32 s86, s66                                      // 0000000081C8: BF0A4256
	s_cselect_b64 s[28:29], s[36:37], s[60:61]                 // 0000000081CC: 859C3C24
	s_cmp_lt_u32 s87, s66                                      // 0000000081D0: BF0A4257
	s_cselect_b64 s[30:31], s[36:37], s[60:61]                 // 0000000081D4: 859E3C24
	s_cmp_lt_u32 s88, s66                                      // 0000000081D8: BF0A4258
	s_cselect_b64 s[32:33], s[36:37], s[60:61]                 // 0000000081DC: 85A03C24
	s_cmp_lt_u32 s89, s66                                      // 0000000081E0: BF0A4259
	s_cselect_b64 s[34:35], s[36:37], s[60:61]                 // 0000000081E4: 85A23C24
	v_cvt_f32_i32_e32 v128, v128                               // 0000000081E8: 7F000B80
	v_cvt_f32_i32_e32 v129, v129                               // 0000000081EC: 7F020B81
	v_cvt_f32_i32_e32 v130, v130                               // 0000000081F0: 7F040B82
	v_cvt_f32_i32_e32 v131, v131                               // 0000000081F4: 7F060B83
	v_mul_f32_e32 v128, v14, v128                              // 0000000081F8: 0B01010E
	v_mul_f32_e32 v129, v14, v129                              // 0000000081FC: 0B03030E
	v_mul_f32_e32 v130, v14, v130                              // 000000008200: 0B05050E
	v_mul_f32_e32 v131, v14, v131                              // 000000008204: 0B07070E
	v_mul_f32_dpp v128, v16, v128 row_newbcast:0 row_mask:0xf bank_mask:0xf// 000000008208: 0B0100FA FF015010
	v_mul_f32_dpp v129, v16, v129 row_newbcast:1 row_mask:0xf bank_mask:0xf// 000000008210: 0B0302FA FF015110
	v_mul_f32_dpp v130, v16, v130 row_newbcast:2 row_mask:0xf bank_mask:0xf// 000000008218: 0B0504FA FF015210
	v_mul_f32_dpp v131, v16, v131 row_newbcast:3 row_mask:0xf bank_mask:0xf// 000000008220: 0B0706FA FF015310
	v_cvt_f32_i32_e32 v132, v132                               // 000000008228: 7F080B84
	v_cvt_f32_i32_e32 v133, v133                               // 00000000822C: 7F0A0B85
	v_cvt_f32_i32_e32 v134, v134                               // 000000008230: 7F0C0B86
	v_cvt_f32_i32_e32 v135, v135                               // 000000008234: 7F0E0B87
	v_mul_f32_e32 v132, v15, v132                              // 000000008238: 0B09090F
	v_mul_f32_e32 v133, v15, v133                              // 00000000823C: 0B0B0B0F
	v_mul_f32_e32 v134, v15, v134                              // 000000008240: 0B0D0D0F
	v_mul_f32_e32 v135, v15, v135                              // 000000008244: 0B0F0F0F
	v_mul_f32_dpp v132, v16, v132 row_newbcast:0 row_mask:0xf bank_mask:0xf// 000000008248: 0B0908FA FF015010
	v_mul_f32_dpp v133, v16, v133 row_newbcast:1 row_mask:0xf bank_mask:0xf// 000000008250: 0B0B0AFA FF015110
	v_mul_f32_dpp v134, v16, v134 row_newbcast:2 row_mask:0xf bank_mask:0xf// 000000008258: 0B0D0CFA FF015210
	v_mul_f32_dpp v135, v16, v135 row_newbcast:3 row_mask:0xf bank_mask:0xf// 000000008260: 0B0F0EFA FF015310
	v_cvt_f32_i32_e32 v136, v136                               // 000000008268: 7F100B88
	v_cvt_f32_i32_e32 v137, v137                               // 00000000826C: 7F120B89
	v_cvt_f32_i32_e32 v138, v138                               // 000000008270: 7F140B8A
	v_cvt_f32_i32_e32 v139, v139                               // 000000008274: 7F160B8B
	v_mul_f32_e32 v136, v14, v136                              // 000000008278: 0B11110E
	v_mul_f32_e32 v137, v14, v137                              // 00000000827C: 0B13130E
	v_mul_f32_e32 v138, v14, v138                              // 000000008280: 0B15150E
	v_mul_f32_e32 v139, v14, v139                              // 000000008284: 0B17170E
	v_mul_f32_dpp v136, v16, v136 row_newbcast:4 row_mask:0xf bank_mask:0xf// 000000008288: 0B1110FA FF015410
	v_mul_f32_dpp v137, v16, v137 row_newbcast:5 row_mask:0xf bank_mask:0xf// 000000008290: 0B1312FA FF015510
	v_mul_f32_dpp v138, v16, v138 row_newbcast:6 row_mask:0xf bank_mask:0xf// 000000008298: 0B1514FA FF015610
	v_mul_f32_dpp v139, v16, v139 row_newbcast:7 row_mask:0xf bank_mask:0xf// 0000000082A0: 0B1716FA FF015710
	v_cvt_f32_i32_e32 v140, v140                               // 0000000082A8: 7F180B8C
	v_cvt_f32_i32_e32 v141, v141                               // 0000000082AC: 7F1A0B8D
	v_cvt_f32_i32_e32 v142, v142                               // 0000000082B0: 7F1C0B8E
	v_cvt_f32_i32_e32 v143, v143                               // 0000000082B4: 7F1E0B8F
	v_mul_f32_e32 v140, v15, v140                              // 0000000082B8: 0B19190F
	v_mul_f32_e32 v141, v15, v141                              // 0000000082BC: 0B1B1B0F
	v_mul_f32_e32 v142, v15, v142                              // 0000000082C0: 0B1D1D0F
	v_mul_f32_e32 v143, v15, v143                              // 0000000082C4: 0B1F1F0F
	v_mul_f32_dpp v140, v16, v140 row_newbcast:4 row_mask:0xf bank_mask:0xf// 0000000082C8: 0B1918FA FF015410
	v_mul_f32_dpp v141, v16, v141 row_newbcast:5 row_mask:0xf bank_mask:0xf// 0000000082D0: 0B1B1AFA FF015510
	v_mul_f32_dpp v142, v16, v142 row_newbcast:6 row_mask:0xf bank_mask:0xf// 0000000082D8: 0B1D1CFA FF015610
	v_mul_f32_dpp v143, v16, v143 row_newbcast:7 row_mask:0xf bank_mask:0xf// 0000000082E0: 0B1F1EFA FF015710
	v_cvt_f32_i32_e32 v144, v144                               // 0000000082E8: 7F200B90
	v_cvt_f32_i32_e32 v145, v145                               // 0000000082EC: 7F220B91
	v_cvt_f32_i32_e32 v146, v146                               // 0000000082F0: 7F240B92
	v_cvt_f32_i32_e32 v147, v147                               // 0000000082F4: 7F260B93
	v_mul_f32_e32 v144, v14, v144                              // 0000000082F8: 0B21210E
	v_mul_f32_e32 v145, v14, v145                              // 0000000082FC: 0B23230E
	v_mul_f32_e32 v146, v14, v146                              // 000000008300: 0B25250E
	v_mul_f32_e32 v147, v14, v147                              // 000000008304: 0B27270E
	v_mul_f32_dpp v144, v16, v144 row_newbcast:8 row_mask:0xf bank_mask:0xf// 000000008308: 0B2120FA FF015810
	v_mul_f32_dpp v145, v16, v145 row_newbcast:9 row_mask:0xf bank_mask:0xf// 000000008310: 0B2322FA FF015910
	v_mul_f32_dpp v146, v16, v146 row_newbcast:10 row_mask:0xf bank_mask:0xf// 000000008318: 0B2524FA FF015A10
	v_mul_f32_dpp v147, v16, v147 row_newbcast:11 row_mask:0xf bank_mask:0xf// 000000008320: 0B2726FA FF015B10
	v_cvt_f32_i32_e32 v148, v148                               // 000000008328: 7F280B94
	v_cvt_f32_i32_e32 v149, v149                               // 00000000832C: 7F2A0B95
	v_cvt_f32_i32_e32 v150, v150                               // 000000008330: 7F2C0B96
	v_cvt_f32_i32_e32 v151, v151                               // 000000008334: 7F2E0B97
	v_mul_f32_e32 v148, v15, v148                              // 000000008338: 0B29290F
	v_mul_f32_e32 v149, v15, v149                              // 00000000833C: 0B2B2B0F
	v_mul_f32_e32 v150, v15, v150                              // 000000008340: 0B2D2D0F
	v_mul_f32_e32 v151, v15, v151                              // 000000008344: 0B2F2F0F
	v_mul_f32_dpp v148, v16, v148 row_newbcast:8 row_mask:0xf bank_mask:0xf// 000000008348: 0B2928FA FF015810
	v_mul_f32_dpp v149, v16, v149 row_newbcast:9 row_mask:0xf bank_mask:0xf// 000000008350: 0B2B2AFA FF015910
	v_mul_f32_dpp v150, v16, v150 row_newbcast:10 row_mask:0xf bank_mask:0xf// 000000008358: 0B2D2CFA FF015A10
	v_mul_f32_dpp v151, v16, v151 row_newbcast:11 row_mask:0xf bank_mask:0xf// 000000008360: 0B2F2EFA FF015B10
	v_cvt_f32_i32_e32 v152, v152                               // 000000008368: 7F300B98
	v_cvt_f32_i32_e32 v153, v153                               // 00000000836C: 7F320B99
	v_cvt_f32_i32_e32 v154, v154                               // 000000008370: 7F340B9A
	v_cvt_f32_i32_e32 v155, v155                               // 000000008374: 7F360B9B
	v_mul_f32_e32 v152, v14, v152                              // 000000008378: 0B31310E
	v_mul_f32_e32 v153, v14, v153                              // 00000000837C: 0B33330E
	v_mul_f32_e32 v154, v14, v154                              // 000000008380: 0B35350E
	v_mul_f32_e32 v155, v14, v155                              // 000000008384: 0B37370E
	v_mul_f32_dpp v152, v16, v152 row_newbcast:12 row_mask:0xf bank_mask:0xf// 000000008388: 0B3130FA FF015C10
	v_mul_f32_dpp v153, v16, v153 row_newbcast:13 row_mask:0xf bank_mask:0xf// 000000008390: 0B3332FA FF015D10
	v_mul_f32_dpp v154, v16, v154 row_newbcast:14 row_mask:0xf bank_mask:0xf// 000000008398: 0B3534FA FF015E10
	v_mul_f32_dpp v155, v16, v155 row_newbcast:15 row_mask:0xf bank_mask:0xf// 0000000083A0: 0B3736FA FF015F10
	v_cvt_f32_i32_e32 v156, v156                               // 0000000083A8: 7F380B9C
	v_cvt_f32_i32_e32 v157, v157                               // 0000000083AC: 7F3A0B9D
	v_cvt_f32_i32_e32 v158, v158                               // 0000000083B0: 7F3C0B9E
	v_cvt_f32_i32_e32 v159, v159                               // 0000000083B4: 7F3E0B9F
	v_mul_f32_e32 v156, v15, v156                              // 0000000083B8: 0B39390F
	v_mul_f32_e32 v157, v15, v157                              // 0000000083BC: 0B3B3B0F
	v_mul_f32_e32 v158, v15, v158                              // 0000000083C0: 0B3D3D0F
	v_mul_f32_e32 v159, v15, v159                              // 0000000083C4: 0B3F3F0F
	v_mul_f32_dpp v156, v16, v156 row_newbcast:12 row_mask:0xf bank_mask:0xf// 0000000083C8: 0B3938FA FF015C10
	v_mul_f32_dpp v157, v16, v157 row_newbcast:13 row_mask:0xf bank_mask:0xf// 0000000083D0: 0B3B3AFA FF015D10
	v_mul_f32_dpp v158, v16, v158 row_newbcast:14 row_mask:0xf bank_mask:0xf// 0000000083D8: 0B3D3CFA FF015E10
	v_mul_f32_dpp v159, v16, v159 row_newbcast:15 row_mask:0xf bank_mask:0xf// 0000000083E0: 0B3F3EFA FF015F10
	v_cvt_f32_i32_e32 v160, v160                               // 0000000083E8: 7F400BA0
	v_cvt_f32_i32_e32 v161, v161                               // 0000000083EC: 7F420BA1
	v_cvt_f32_i32_e32 v162, v162                               // 0000000083F0: 7F440BA2
	v_cvt_f32_i32_e32 v163, v163                               // 0000000083F4: 7F460BA3
	v_mul_f32_e32 v160, v14, v160                              // 0000000083F8: 0B41410E
	v_mul_f32_e32 v161, v14, v161                              // 0000000083FC: 0B43430E
	v_mul_f32_e32 v162, v14, v162                              // 000000008400: 0B45450E
	v_mul_f32_e32 v163, v14, v163                              // 000000008404: 0B47470E
	v_mul_f32_dpp v160, v17, v160 row_newbcast:0 row_mask:0xf bank_mask:0xf// 000000008408: 0B4140FA FF015011
	v_mul_f32_dpp v161, v17, v161 row_newbcast:1 row_mask:0xf bank_mask:0xf// 000000008410: 0B4342FA FF015111
	v_mul_f32_dpp v162, v17, v162 row_newbcast:2 row_mask:0xf bank_mask:0xf// 000000008418: 0B4544FA FF015211
	v_mul_f32_dpp v163, v17, v163 row_newbcast:3 row_mask:0xf bank_mask:0xf// 000000008420: 0B4746FA FF015311
	v_cvt_f32_i32_e32 v164, v164                               // 000000008428: 7F480BA4
	v_cvt_f32_i32_e32 v165, v165                               // 00000000842C: 7F4A0BA5
	v_cvt_f32_i32_e32 v166, v166                               // 000000008430: 7F4C0BA6
	v_cvt_f32_i32_e32 v167, v167                               // 000000008434: 7F4E0BA7
	v_mul_f32_e32 v164, v15, v164                              // 000000008438: 0B49490F
	v_mul_f32_e32 v165, v15, v165                              // 00000000843C: 0B4B4B0F
	v_mul_f32_e32 v166, v15, v166                              // 000000008440: 0B4D4D0F
	v_mul_f32_e32 v167, v15, v167                              // 000000008444: 0B4F4F0F
	v_mul_f32_dpp v164, v17, v164 row_newbcast:0 row_mask:0xf bank_mask:0xf// 000000008448: 0B4948FA FF015011
	v_mul_f32_dpp v165, v17, v165 row_newbcast:1 row_mask:0xf bank_mask:0xf// 000000008450: 0B4B4AFA FF015111
	v_mul_f32_dpp v166, v17, v166 row_newbcast:2 row_mask:0xf bank_mask:0xf// 000000008458: 0B4D4CFA FF015211
	v_mul_f32_dpp v167, v17, v167 row_newbcast:3 row_mask:0xf bank_mask:0xf// 000000008460: 0B4F4EFA FF015311
	v_cvt_f32_i32_e32 v168, v168                               // 000000008468: 7F500BA8
	v_cvt_f32_i32_e32 v169, v169                               // 00000000846C: 7F520BA9
	v_cvt_f32_i32_e32 v170, v170                               // 000000008470: 7F540BAA
	v_cvt_f32_i32_e32 v171, v171                               // 000000008474: 7F560BAB
	v_mul_f32_e32 v168, v14, v168                              // 000000008478: 0B51510E
	v_mul_f32_e32 v169, v14, v169                              // 00000000847C: 0B53530E
	v_mul_f32_e32 v170, v14, v170                              // 000000008480: 0B55550E
	v_mul_f32_e32 v171, v14, v171                              // 000000008484: 0B57570E
	v_mul_f32_dpp v168, v17, v168 row_newbcast:4 row_mask:0xf bank_mask:0xf// 000000008488: 0B5150FA FF015411
	v_mul_f32_dpp v169, v17, v169 row_newbcast:5 row_mask:0xf bank_mask:0xf// 000000008490: 0B5352FA FF015511
	v_mul_f32_dpp v170, v17, v170 row_newbcast:6 row_mask:0xf bank_mask:0xf// 000000008498: 0B5554FA FF015611
	v_mul_f32_dpp v171, v17, v171 row_newbcast:7 row_mask:0xf bank_mask:0xf// 0000000084A0: 0B5756FA FF015711
	v_cvt_f32_i32_e32 v172, v172                               // 0000000084A8: 7F580BAC
	v_cvt_f32_i32_e32 v173, v173                               // 0000000084AC: 7F5A0BAD
	v_cvt_f32_i32_e32 v174, v174                               // 0000000084B0: 7F5C0BAE
	v_cvt_f32_i32_e32 v175, v175                               // 0000000084B4: 7F5E0BAF
	v_mul_f32_e32 v172, v15, v172                              // 0000000084B8: 0B59590F
	v_mul_f32_e32 v173, v15, v173                              // 0000000084BC: 0B5B5B0F
	v_mul_f32_e32 v174, v15, v174                              // 0000000084C0: 0B5D5D0F
	v_mul_f32_e32 v175, v15, v175                              // 0000000084C4: 0B5F5F0F
	v_mul_f32_dpp v172, v17, v172 row_newbcast:4 row_mask:0xf bank_mask:0xf// 0000000084C8: 0B5958FA FF015411
	v_mul_f32_dpp v173, v17, v173 row_newbcast:5 row_mask:0xf bank_mask:0xf// 0000000084D0: 0B5B5AFA FF015511
	v_mul_f32_dpp v174, v17, v174 row_newbcast:6 row_mask:0xf bank_mask:0xf// 0000000084D8: 0B5D5CFA FF015611
	v_mul_f32_dpp v175, v17, v175 row_newbcast:7 row_mask:0xf bank_mask:0xf// 0000000084E0: 0B5F5EFA FF015711
	v_cvt_f32_i32_e32 v176, v176                               // 0000000084E8: 7F600BB0
	v_cvt_f32_i32_e32 v177, v177                               // 0000000084EC: 7F620BB1
	v_cvt_f32_i32_e32 v178, v178                               // 0000000084F0: 7F640BB2
	v_cvt_f32_i32_e32 v179, v179                               // 0000000084F4: 7F660BB3
	v_mul_f32_e32 v176, v14, v176                              // 0000000084F8: 0B61610E
	v_mul_f32_e32 v177, v14, v177                              // 0000000084FC: 0B63630E
	v_mul_f32_e32 v178, v14, v178                              // 000000008500: 0B65650E
	v_mul_f32_e32 v179, v14, v179                              // 000000008504: 0B67670E
	v_mul_f32_dpp v176, v17, v176 row_newbcast:8 row_mask:0xf bank_mask:0xf// 000000008508: 0B6160FA FF015811
	v_mul_f32_dpp v177, v17, v177 row_newbcast:9 row_mask:0xf bank_mask:0xf// 000000008510: 0B6362FA FF015911
	v_mul_f32_dpp v178, v17, v178 row_newbcast:10 row_mask:0xf bank_mask:0xf// 000000008518: 0B6564FA FF015A11
	v_mul_f32_dpp v179, v17, v179 row_newbcast:11 row_mask:0xf bank_mask:0xf// 000000008520: 0B6766FA FF015B11
	v_cvt_f32_i32_e32 v180, v180                               // 000000008528: 7F680BB4
	v_cvt_f32_i32_e32 v181, v181                               // 00000000852C: 7F6A0BB5
	v_cvt_f32_i32_e32 v182, v182                               // 000000008530: 7F6C0BB6
	v_cvt_f32_i32_e32 v183, v183                               // 000000008534: 7F6E0BB7
	v_mul_f32_e32 v180, v15, v180                              // 000000008538: 0B69690F
	v_mul_f32_e32 v181, v15, v181                              // 00000000853C: 0B6B6B0F
	v_mul_f32_e32 v182, v15, v182                              // 000000008540: 0B6D6D0F
	v_mul_f32_e32 v183, v15, v183                              // 000000008544: 0B6F6F0F
	v_mul_f32_dpp v180, v17, v180 row_newbcast:8 row_mask:0xf bank_mask:0xf// 000000008548: 0B6968FA FF015811
	v_mul_f32_dpp v181, v17, v181 row_newbcast:9 row_mask:0xf bank_mask:0xf// 000000008550: 0B6B6AFA FF015911
	v_mul_f32_dpp v182, v17, v182 row_newbcast:10 row_mask:0xf bank_mask:0xf// 000000008558: 0B6D6CFA FF015A11
	v_mul_f32_dpp v183, v17, v183 row_newbcast:11 row_mask:0xf bank_mask:0xf// 000000008560: 0B6F6EFA FF015B11
	v_cvt_f32_i32_e32 v184, v184                               // 000000008568: 7F700BB8
	v_cvt_f32_i32_e32 v185, v185                               // 00000000856C: 7F720BB9
	v_cvt_f32_i32_e32 v186, v186                               // 000000008570: 7F740BBA
	v_cvt_f32_i32_e32 v187, v187                               // 000000008574: 7F760BBB
	v_mul_f32_e32 v184, v14, v184                              // 000000008578: 0B71710E
	v_mul_f32_e32 v185, v14, v185                              // 00000000857C: 0B73730E
	v_mul_f32_e32 v186, v14, v186                              // 000000008580: 0B75750E
	v_mul_f32_e32 v187, v14, v187                              // 000000008584: 0B77770E
	v_mul_f32_dpp v184, v17, v184 row_newbcast:12 row_mask:0xf bank_mask:0xf// 000000008588: 0B7170FA FF015C11
	v_mul_f32_dpp v185, v17, v185 row_newbcast:13 row_mask:0xf bank_mask:0xf// 000000008590: 0B7372FA FF015D11
	v_mul_f32_dpp v186, v17, v186 row_newbcast:14 row_mask:0xf bank_mask:0xf// 000000008598: 0B7574FA FF015E11
	v_mul_f32_dpp v187, v17, v187 row_newbcast:15 row_mask:0xf bank_mask:0xf// 0000000085A0: 0B7776FA FF015F11
	v_cvt_f32_i32_e32 v188, v188                               // 0000000085A8: 7F780BBC
	v_cvt_f32_i32_e32 v189, v189                               // 0000000085AC: 7F7A0BBD
	v_cvt_f32_i32_e32 v190, v190                               // 0000000085B0: 7F7C0BBE
	v_cvt_f32_i32_e32 v191, v191                               // 0000000085B4: 7F7E0BBF
	v_mul_f32_e32 v188, v15, v188                              // 0000000085B8: 0B79790F
	v_mul_f32_e32 v189, v15, v189                              // 0000000085BC: 0B7B7B0F
	v_mul_f32_e32 v190, v15, v190                              // 0000000085C0: 0B7D7D0F
	v_mul_f32_e32 v191, v15, v191                              // 0000000085C4: 0B7F7F0F
	v_mul_f32_dpp v188, v17, v188 row_newbcast:12 row_mask:0xf bank_mask:0xf// 0000000085C8: 0B7978FA FF015C11
	v_mul_f32_dpp v189, v17, v189 row_newbcast:13 row_mask:0xf bank_mask:0xf// 0000000085D0: 0B7B7AFA FF015D11
	v_mul_f32_dpp v190, v17, v190 row_newbcast:14 row_mask:0xf bank_mask:0xf// 0000000085D8: 0B7D7CFA FF015E11
	v_mul_f32_dpp v191, v17, v191 row_newbcast:15 row_mask:0xf bank_mask:0xf// 0000000085E0: 0B7F7EFA FF015F11
	s_waitcnt vmcnt(28)                                        // 0000000085E8: BF8C4F7C
	buffer_load_dwordx4 a[0:3], v42, s[12:15], 0 offen         // 0000000085EC: E05C1000 8083002A
	v_mul_f32_e32 v50, v128, v128                              // 0000000085F4: 0A650180
	v_mul_f32_e32 v51, v129, v129                              // 0000000085F8: 0A670381
	v_mul_f32_e32 v52, v130, v130                              // 0000000085FC: 0A690582
	v_mul_f32_e32 v53, v131, v131                              // 000000008600: 0A6B0783
	v_fma_f32 v50, v50, s77, v1                                // 000000008604: D1CB0032 04049B32
	v_fma_f32 v51, v51, s77, v1                                // 00000000860C: D1CB0033 04049B33
	v_fma_f32 v52, v52, s77, v1                                // 000000008614: D1CB0034 04049B34
	v_fma_f32 v53, v53, s77, v1                                // 00000000861C: D1CB0035 04049B35
	v_mul_f32_e32 v50, v50, v128                               // 000000008624: 0A650132
	v_mul_f32_e32 v51, v51, v129                               // 000000008628: 0A670333
	v_mul_f32_e32 v52, v52, v130                               // 00000000862C: 0A690534
	v_mul_f32_e32 v53, v53, v131                               // 000000008630: 0A6B0735
	v_mul_f32_e64 v50, v50, s6                                 // 000000008634: D1050032 00000D32
	v_mul_f32_e64 v51, v51, s6                                 // 00000000863C: D1050033 00000D33
	v_mul_f32_e64 v52, v52, s6                                 // 000000008644: D1050034 00000D34
	v_mul_f32_e64 v53, v53, s6                                 // 00000000864C: D1050035 00000D35
	v_exp_f32_e32 v50, v50                                     // 000000008654: 7E644132
	v_exp_f32_e32 v51, v51                                     // 000000008658: 7E664133
	v_exp_f32_e32 v52, v52                                     // 00000000865C: 7E684134
	v_exp_f32_e32 v53, v53                                     // 000000008660: 7E6A4135
	buffer_load_dwordx4 a[4:7], v43, s[12:15], 0 offen         // 000000008664: E05C1000 8083042B
	v_add_f32_e64 v50, v50, 1.0                                // 00000000866C: D1010032 0001E532
	v_add_f32_e64 v51, v51, 1.0                                // 000000008674: D1010033 0001E533
	v_add_f32_e64 v52, v52, 1.0                                // 00000000867C: D1010034 0001E534
	v_add_f32_e64 v53, v53, 1.0                                // 000000008684: D1010035 0001E535
	v_rcp_f32_e32 v50, v50                                     // 00000000868C: 7E644532
	v_rcp_f32_e32 v51, v51                                     // 000000008690: 7E664533
	v_rcp_f32_e32 v52, v52                                     // 000000008694: 7E684534
	v_rcp_f32_e32 v53, v53                                     // 000000008698: 7E6A4535
	v_mul_f32_e32 v128, v128, v50                              // 00000000869C: 0B006580
	v_mul_f32_e32 v129, v129, v51                              // 0000000086A0: 0B026781
	v_mul_f32_e32 v130, v130, v52                              // 0000000086A4: 0B046982
	v_mul_f32_e32 v131, v131, v53                              // 0000000086A8: 0B066B83
	buffer_load_dwordx4 a[8:11], v44, s[12:15], 0 offen        // 0000000086AC: E05C1000 8083082C
	v_mul_f32_e32 v50, v132, v132                              // 0000000086B4: 0A650984
	v_mul_f32_e32 v51, v133, v133                              // 0000000086B8: 0A670B85
	v_mul_f32_e32 v52, v134, v134                              // 0000000086BC: 0A690D86
	v_mul_f32_e32 v53, v135, v135                              // 0000000086C0: 0A6B0F87
	v_fma_f32 v50, v50, s77, v1                                // 0000000086C4: D1CB0032 04049B32
	v_fma_f32 v51, v51, s77, v1                                // 0000000086CC: D1CB0033 04049B33
	v_fma_f32 v52, v52, s77, v1                                // 0000000086D4: D1CB0034 04049B34
	v_fma_f32 v53, v53, s77, v1                                // 0000000086DC: D1CB0035 04049B35
	v_mul_f32_e32 v50, v50, v132                               // 0000000086E4: 0A650932
	v_mul_f32_e32 v51, v51, v133                               // 0000000086E8: 0A670B33
	v_mul_f32_e32 v52, v52, v134                               // 0000000086EC: 0A690D34
	v_mul_f32_e32 v53, v53, v135                               // 0000000086F0: 0A6B0F35
	v_mul_f32_e64 v50, v50, s6                                 // 0000000086F4: D1050032 00000D32
	v_mul_f32_e64 v51, v51, s6                                 // 0000000086FC: D1050033 00000D33
	v_mul_f32_e64 v52, v52, s6                                 // 000000008704: D1050034 00000D34
	v_mul_f32_e64 v53, v53, s6                                 // 00000000870C: D1050035 00000D35
	v_exp_f32_e32 v50, v50                                     // 000000008714: 7E644132
	v_exp_f32_e32 v51, v51                                     // 000000008718: 7E664133
	v_exp_f32_e32 v52, v52                                     // 00000000871C: 7E684134
	v_exp_f32_e32 v53, v53                                     // 000000008720: 7E6A4135
	buffer_load_dwordx4 a[12:15], v45, s[12:15], 0 offen       // 000000008724: E05C1000 80830C2D
	s_add_u32 s12, s78, s12                                    // 00000000872C: 800C0C4E
	s_addc_u32 s13, 0, s13                                     // 000000008730: 820D0D80
	v_add_f32_e64 v50, v50, 1.0                                // 000000008734: D1010032 0001E532
	v_add_f32_e64 v51, v51, 1.0                                // 00000000873C: D1010033 0001E533
	v_add_f32_e64 v52, v52, 1.0                                // 000000008744: D1010034 0001E534
	v_add_f32_e64 v53, v53, 1.0                                // 00000000874C: D1010035 0001E535
	v_rcp_f32_e32 v50, v50                                     // 000000008754: 7E644532
	v_rcp_f32_e32 v51, v51                                     // 000000008758: 7E664533
	v_rcp_f32_e32 v52, v52                                     // 00000000875C: 7E684534
	v_rcp_f32_e32 v53, v53                                     // 000000008760: 7E6A4535
	v_mul_f32_e32 v132, v132, v50                              // 000000008764: 0B086584
	v_mul_f32_e32 v133, v133, v51                              // 000000008768: 0B0A6785
	v_mul_f32_e32 v134, v134, v52                              // 00000000876C: 0B0C6986
	v_mul_f32_e32 v135, v135, v53                              // 000000008770: 0B0E6B87
	s_waitcnt vmcnt(28)                                        // 000000008774: BF8C4F7C
	buffer_load_dwordx4 a[16:19], v42, s[12:15], 0 offen       // 000000008778: E05C1000 8083102A
	v_mul_f32_e32 v50, v136, v136                              // 000000008780: 0A651188
	v_mul_f32_e32 v51, v137, v137                              // 000000008784: 0A671389
	v_mul_f32_e32 v52, v138, v138                              // 000000008788: 0A69158A
	v_mul_f32_e32 v53, v139, v139                              // 00000000878C: 0A6B178B
	v_fma_f32 v50, v50, s77, v1                                // 000000008790: D1CB0032 04049B32
	v_fma_f32 v51, v51, s77, v1                                // 000000008798: D1CB0033 04049B33
	v_fma_f32 v52, v52, s77, v1                                // 0000000087A0: D1CB0034 04049B34
	v_fma_f32 v53, v53, s77, v1                                // 0000000087A8: D1CB0035 04049B35
	v_mul_f32_e32 v50, v50, v136                               // 0000000087B0: 0A651132
	v_mul_f32_e32 v51, v51, v137                               // 0000000087B4: 0A671333
	v_mul_f32_e32 v52, v52, v138                               // 0000000087B8: 0A691534
	v_mul_f32_e32 v53, v53, v139                               // 0000000087BC: 0A6B1735
	v_mul_f32_e64 v50, v50, s6                                 // 0000000087C0: D1050032 00000D32
	v_mul_f32_e64 v51, v51, s6                                 // 0000000087C8: D1050033 00000D33
	v_mul_f32_e64 v52, v52, s6                                 // 0000000087D0: D1050034 00000D34
	v_mul_f32_e64 v53, v53, s6                                 // 0000000087D8: D1050035 00000D35
	v_exp_f32_e32 v50, v50                                     // 0000000087E0: 7E644132
	v_exp_f32_e32 v51, v51                                     // 0000000087E4: 7E664133
	v_exp_f32_e32 v52, v52                                     // 0000000087E8: 7E684134
	v_exp_f32_e32 v53, v53                                     // 0000000087EC: 7E6A4135
	buffer_load_dwordx4 a[20:23], v43, s[12:15], 0 offen       // 0000000087F0: E05C1000 8083142B
	v_add_f32_e64 v50, v50, 1.0                                // 0000000087F8: D1010032 0001E532
	v_add_f32_e64 v51, v51, 1.0                                // 000000008800: D1010033 0001E533
	v_add_f32_e64 v52, v52, 1.0                                // 000000008808: D1010034 0001E534
	v_add_f32_e64 v53, v53, 1.0                                // 000000008810: D1010035 0001E535
	v_rcp_f32_e32 v50, v50                                     // 000000008818: 7E644532
	v_rcp_f32_e32 v51, v51                                     // 00000000881C: 7E664533
	v_rcp_f32_e32 v52, v52                                     // 000000008820: 7E684534
	v_rcp_f32_e32 v53, v53                                     // 000000008824: 7E6A4535
	v_mul_f32_e32 v136, v136, v50                              // 000000008828: 0B106588
	v_mul_f32_e32 v137, v137, v51                              // 00000000882C: 0B126789
	v_mul_f32_e32 v138, v138, v52                              // 000000008830: 0B14698A
	v_mul_f32_e32 v139, v139, v53                              // 000000008834: 0B166B8B
	buffer_load_dwordx4 a[24:27], v44, s[12:15], 0 offen       // 000000008838: E05C1000 8083182C
	v_mul_f32_e32 v50, v140, v140                              // 000000008840: 0A65198C
	v_mul_f32_e32 v51, v141, v141                              // 000000008844: 0A671B8D
	v_mul_f32_e32 v52, v142, v142                              // 000000008848: 0A691D8E
	v_mul_f32_e32 v53, v143, v143                              // 00000000884C: 0A6B1F8F
	v_fma_f32 v50, v50, s77, v1                                // 000000008850: D1CB0032 04049B32
	v_fma_f32 v51, v51, s77, v1                                // 000000008858: D1CB0033 04049B33
	v_fma_f32 v52, v52, s77, v1                                // 000000008860: D1CB0034 04049B34
	v_fma_f32 v53, v53, s77, v1                                // 000000008868: D1CB0035 04049B35
	v_mul_f32_e32 v50, v50, v140                               // 000000008870: 0A651932
	v_mul_f32_e32 v51, v51, v141                               // 000000008874: 0A671B33
	v_mul_f32_e32 v52, v52, v142                               // 000000008878: 0A691D34
	v_mul_f32_e32 v53, v53, v143                               // 00000000887C: 0A6B1F35
	v_mul_f32_e64 v50, v50, s6                                 // 000000008880: D1050032 00000D32
	v_mul_f32_e64 v51, v51, s6                                 // 000000008888: D1050033 00000D33
	v_mul_f32_e64 v52, v52, s6                                 // 000000008890: D1050034 00000D34
	v_mul_f32_e64 v53, v53, s6                                 // 000000008898: D1050035 00000D35
	v_exp_f32_e32 v50, v50                                     // 0000000088A0: 7E644132
	v_exp_f32_e32 v51, v51                                     // 0000000088A4: 7E664133
	v_exp_f32_e32 v52, v52                                     // 0000000088A8: 7E684134
	v_exp_f32_e32 v53, v53                                     // 0000000088AC: 7E6A4135
	buffer_load_dwordx4 a[28:31], v45, s[12:15], 0 offen       // 0000000088B0: E05C1000 80831C2D
	s_add_u32 s12, s78, s12                                    // 0000000088B8: 800C0C4E
	s_addc_u32 s13, 0, s13                                     // 0000000088BC: 820D0D80
	v_add_f32_e64 v50, v50, 1.0                                // 0000000088C0: D1010032 0001E532
	v_add_f32_e64 v51, v51, 1.0                                // 0000000088C8: D1010033 0001E533
	v_add_f32_e64 v52, v52, 1.0                                // 0000000088D0: D1010034 0001E534
	v_add_f32_e64 v53, v53, 1.0                                // 0000000088D8: D1010035 0001E535
	v_rcp_f32_e32 v50, v50                                     // 0000000088E0: 7E644532
	v_rcp_f32_e32 v51, v51                                     // 0000000088E4: 7E664533
	v_rcp_f32_e32 v52, v52                                     // 0000000088E8: 7E684534
	v_rcp_f32_e32 v53, v53                                     // 0000000088EC: 7E6A4535
	v_mul_f32_e32 v140, v140, v50                              // 0000000088F0: 0B18658C
	v_mul_f32_e32 v141, v141, v51                              // 0000000088F4: 0B1A678D
	v_mul_f32_e32 v142, v142, v52                              // 0000000088F8: 0B1C698E
	v_mul_f32_e32 v143, v143, v53                              // 0000000088FC: 0B1E6B8F
	s_waitcnt vmcnt(28)                                        // 000000008900: BF8C4F7C
	buffer_load_dwordx4 a[32:35], v42, s[12:15], 0 offen       // 000000008904: E05C1000 8083202A
	v_mul_f32_e32 v50, v144, v144                              // 00000000890C: 0A652190
	v_mul_f32_e32 v51, v145, v145                              // 000000008910: 0A672391
	v_mul_f32_e32 v52, v146, v146                              // 000000008914: 0A692592
	v_mul_f32_e32 v53, v147, v147                              // 000000008918: 0A6B2793
	v_fma_f32 v50, v50, s77, v1                                // 00000000891C: D1CB0032 04049B32
	v_fma_f32 v51, v51, s77, v1                                // 000000008924: D1CB0033 04049B33
	v_fma_f32 v52, v52, s77, v1                                // 00000000892C: D1CB0034 04049B34
	v_fma_f32 v53, v53, s77, v1                                // 000000008934: D1CB0035 04049B35
	v_mul_f32_e32 v50, v50, v144                               // 00000000893C: 0A652132
	v_mul_f32_e32 v51, v51, v145                               // 000000008940: 0A672333
	v_mul_f32_e32 v52, v52, v146                               // 000000008944: 0A692534
	v_mul_f32_e32 v53, v53, v147                               // 000000008948: 0A6B2735
	v_mul_f32_e64 v50, v50, s6                                 // 00000000894C: D1050032 00000D32
	v_mul_f32_e64 v51, v51, s6                                 // 000000008954: D1050033 00000D33
	v_mul_f32_e64 v52, v52, s6                                 // 00000000895C: D1050034 00000D34
	v_mul_f32_e64 v53, v53, s6                                 // 000000008964: D1050035 00000D35
	v_exp_f32_e32 v50, v50                                     // 00000000896C: 7E644132
	v_exp_f32_e32 v51, v51                                     // 000000008970: 7E664133
	v_exp_f32_e32 v52, v52                                     // 000000008974: 7E684134
	v_exp_f32_e32 v53, v53                                     // 000000008978: 7E6A4135
	buffer_load_dwordx4 a[36:39], v43, s[12:15], 0 offen       // 00000000897C: E05C1000 8083242B
	v_add_f32_e64 v50, v50, 1.0                                // 000000008984: D1010032 0001E532
	v_add_f32_e64 v51, v51, 1.0                                // 00000000898C: D1010033 0001E533
	v_add_f32_e64 v52, v52, 1.0                                // 000000008994: D1010034 0001E534
	v_add_f32_e64 v53, v53, 1.0                                // 00000000899C: D1010035 0001E535
	v_rcp_f32_e32 v50, v50                                     // 0000000089A4: 7E644532
	v_rcp_f32_e32 v51, v51                                     // 0000000089A8: 7E664533
	v_rcp_f32_e32 v52, v52                                     // 0000000089AC: 7E684534
	v_rcp_f32_e32 v53, v53                                     // 0000000089B0: 7E6A4535
	v_mul_f32_e32 v144, v144, v50                              // 0000000089B4: 0B206590
	v_mul_f32_e32 v145, v145, v51                              // 0000000089B8: 0B226791
	v_mul_f32_e32 v146, v146, v52                              // 0000000089BC: 0B246992
	v_mul_f32_e32 v147, v147, v53                              // 0000000089C0: 0B266B93
	buffer_load_dwordx4 a[40:43], v44, s[12:15], 0 offen       // 0000000089C4: E05C1000 8083282C
	v_mul_f32_e32 v50, v148, v148                              // 0000000089CC: 0A652994
	v_mul_f32_e32 v51, v149, v149                              // 0000000089D0: 0A672B95
	v_mul_f32_e32 v52, v150, v150                              // 0000000089D4: 0A692D96
	v_mul_f32_e32 v53, v151, v151                              // 0000000089D8: 0A6B2F97
	v_fma_f32 v50, v50, s77, v1                                // 0000000089DC: D1CB0032 04049B32
	v_fma_f32 v51, v51, s77, v1                                // 0000000089E4: D1CB0033 04049B33
	v_fma_f32 v52, v52, s77, v1                                // 0000000089EC: D1CB0034 04049B34
	v_fma_f32 v53, v53, s77, v1                                // 0000000089F4: D1CB0035 04049B35
	v_mul_f32_e32 v50, v50, v148                               // 0000000089FC: 0A652932
	v_mul_f32_e32 v51, v51, v149                               // 000000008A00: 0A672B33
	v_mul_f32_e32 v52, v52, v150                               // 000000008A04: 0A692D34
	v_mul_f32_e32 v53, v53, v151                               // 000000008A08: 0A6B2F35
	v_mul_f32_e64 v50, v50, s6                                 // 000000008A0C: D1050032 00000D32
	v_mul_f32_e64 v51, v51, s6                                 // 000000008A14: D1050033 00000D33
	v_mul_f32_e64 v52, v52, s6                                 // 000000008A1C: D1050034 00000D34
	v_mul_f32_e64 v53, v53, s6                                 // 000000008A24: D1050035 00000D35
	v_exp_f32_e32 v50, v50                                     // 000000008A2C: 7E644132
	v_exp_f32_e32 v51, v51                                     // 000000008A30: 7E664133
	v_exp_f32_e32 v52, v52                                     // 000000008A34: 7E684134
	v_exp_f32_e32 v53, v53                                     // 000000008A38: 7E6A4135
	buffer_load_dwordx4 a[44:47], v45, s[12:15], 0 offen       // 000000008A3C: E05C1000 80832C2D
	s_add_u32 s12, s78, s12                                    // 000000008A44: 800C0C4E
	s_addc_u32 s13, 0, s13                                     // 000000008A48: 820D0D80
	v_add_f32_e64 v50, v50, 1.0                                // 000000008A4C: D1010032 0001E532
	v_add_f32_e64 v51, v51, 1.0                                // 000000008A54: D1010033 0001E533
	v_add_f32_e64 v52, v52, 1.0                                // 000000008A5C: D1010034 0001E534
	v_add_f32_e64 v53, v53, 1.0                                // 000000008A64: D1010035 0001E535
	v_rcp_f32_e32 v50, v50                                     // 000000008A6C: 7E644532
	v_rcp_f32_e32 v51, v51                                     // 000000008A70: 7E664533
	v_rcp_f32_e32 v52, v52                                     // 000000008A74: 7E684534
	v_rcp_f32_e32 v53, v53                                     // 000000008A78: 7E6A4535
	v_mul_f32_e32 v148, v148, v50                              // 000000008A7C: 0B286594
	v_mul_f32_e32 v149, v149, v51                              // 000000008A80: 0B2A6795
	v_mul_f32_e32 v150, v150, v52                              // 000000008A84: 0B2C6996
	v_mul_f32_e32 v151, v151, v53                              // 000000008A88: 0B2E6B97
	s_waitcnt vmcnt(28)                                        // 000000008A8C: BF8C4F7C
	buffer_load_dwordx4 a[48:51], v42, s[12:15], 0 offen       // 000000008A90: E05C1000 8083302A
	v_mul_f32_e32 v50, v152, v152                              // 000000008A98: 0A653198
	v_mul_f32_e32 v51, v153, v153                              // 000000008A9C: 0A673399
	v_mul_f32_e32 v52, v154, v154                              // 000000008AA0: 0A69359A
	v_mul_f32_e32 v53, v155, v155                              // 000000008AA4: 0A6B379B
	v_fma_f32 v50, v50, s77, v1                                // 000000008AA8: D1CB0032 04049B32
	v_fma_f32 v51, v51, s77, v1                                // 000000008AB0: D1CB0033 04049B33
	v_fma_f32 v52, v52, s77, v1                                // 000000008AB8: D1CB0034 04049B34
	v_fma_f32 v53, v53, s77, v1                                // 000000008AC0: D1CB0035 04049B35
	v_mul_f32_e32 v50, v50, v152                               // 000000008AC8: 0A653132
	v_mul_f32_e32 v51, v51, v153                               // 000000008ACC: 0A673333
	v_mul_f32_e32 v52, v52, v154                               // 000000008AD0: 0A693534
	v_mul_f32_e32 v53, v53, v155                               // 000000008AD4: 0A6B3735
	v_mul_f32_e64 v50, v50, s6                                 // 000000008AD8: D1050032 00000D32
	v_mul_f32_e64 v51, v51, s6                                 // 000000008AE0: D1050033 00000D33
	v_mul_f32_e64 v52, v52, s6                                 // 000000008AE8: D1050034 00000D34
	v_mul_f32_e64 v53, v53, s6                                 // 000000008AF0: D1050035 00000D35
	v_exp_f32_e32 v50, v50                                     // 000000008AF8: 7E644132
	v_exp_f32_e32 v51, v51                                     // 000000008AFC: 7E664133
	v_exp_f32_e32 v52, v52                                     // 000000008B00: 7E684134
	v_exp_f32_e32 v53, v53                                     // 000000008B04: 7E6A4135
	buffer_load_dwordx4 a[52:55], v43, s[12:15], 0 offen       // 000000008B08: E05C1000 8083342B
	v_add_f32_e64 v50, v50, 1.0                                // 000000008B10: D1010032 0001E532
	v_add_f32_e64 v51, v51, 1.0                                // 000000008B18: D1010033 0001E533
	v_add_f32_e64 v52, v52, 1.0                                // 000000008B20: D1010034 0001E534
	v_add_f32_e64 v53, v53, 1.0                                // 000000008B28: D1010035 0001E535
	v_rcp_f32_e32 v50, v50                                     // 000000008B30: 7E644532
	v_rcp_f32_e32 v51, v51                                     // 000000008B34: 7E664533
	v_rcp_f32_e32 v52, v52                                     // 000000008B38: 7E684534
	v_rcp_f32_e32 v53, v53                                     // 000000008B3C: 7E6A4535
	v_mul_f32_e32 v152, v152, v50                              // 000000008B40: 0B306598
	v_mul_f32_e32 v153, v153, v51                              // 000000008B44: 0B326799
	v_mul_f32_e32 v154, v154, v52                              // 000000008B48: 0B34699A
	v_mul_f32_e32 v155, v155, v53                              // 000000008B4C: 0B366B9B
	buffer_load_dwordx4 a[56:59], v44, s[12:15], 0 offen       // 000000008B50: E05C1000 8083382C
	v_mul_f32_e32 v50, v156, v156                              // 000000008B58: 0A65399C
	v_mul_f32_e32 v51, v157, v157                              // 000000008B5C: 0A673B9D
	v_mul_f32_e32 v52, v158, v158                              // 000000008B60: 0A693D9E
	v_mul_f32_e32 v53, v159, v159                              // 000000008B64: 0A6B3F9F
	v_fma_f32 v50, v50, s77, v1                                // 000000008B68: D1CB0032 04049B32
	v_fma_f32 v51, v51, s77, v1                                // 000000008B70: D1CB0033 04049B33
	v_fma_f32 v52, v52, s77, v1                                // 000000008B78: D1CB0034 04049B34
	v_fma_f32 v53, v53, s77, v1                                // 000000008B80: D1CB0035 04049B35
	v_mul_f32_e32 v50, v50, v156                               // 000000008B88: 0A653932
	v_mul_f32_e32 v51, v51, v157                               // 000000008B8C: 0A673B33
	v_mul_f32_e32 v52, v52, v158                               // 000000008B90: 0A693D34
	v_mul_f32_e32 v53, v53, v159                               // 000000008B94: 0A6B3F35
	v_mul_f32_e64 v50, v50, s6                                 // 000000008B98: D1050032 00000D32
	v_mul_f32_e64 v51, v51, s6                                 // 000000008BA0: D1050033 00000D33
	v_mul_f32_e64 v52, v52, s6                                 // 000000008BA8: D1050034 00000D34
	v_mul_f32_e64 v53, v53, s6                                 // 000000008BB0: D1050035 00000D35
	v_exp_f32_e32 v50, v50                                     // 000000008BB8: 7E644132
	v_exp_f32_e32 v51, v51                                     // 000000008BBC: 7E664133
	v_exp_f32_e32 v52, v52                                     // 000000008BC0: 7E684134
	v_exp_f32_e32 v53, v53                                     // 000000008BC4: 7E6A4135
	buffer_load_dwordx4 a[60:63], v45, s[12:15], 0 offen       // 000000008BC8: E05C1000 80833C2D
	s_add_u32 s12, s78, s12                                    // 000000008BD0: 800C0C4E
	s_addc_u32 s13, 0, s13                                     // 000000008BD4: 820D0D80
	v_add_f32_e64 v50, v50, 1.0                                // 000000008BD8: D1010032 0001E532
	v_add_f32_e64 v51, v51, 1.0                                // 000000008BE0: D1010033 0001E533
	v_add_f32_e64 v52, v52, 1.0                                // 000000008BE8: D1010034 0001E534
	v_add_f32_e64 v53, v53, 1.0                                // 000000008BF0: D1010035 0001E535
	v_rcp_f32_e32 v50, v50                                     // 000000008BF8: 7E644532
	v_rcp_f32_e32 v51, v51                                     // 000000008BFC: 7E664533
	v_rcp_f32_e32 v52, v52                                     // 000000008C00: 7E684534
	v_rcp_f32_e32 v53, v53                                     // 000000008C04: 7E6A4535
	v_mul_f32_e32 v156, v156, v50                              // 000000008C08: 0B38659C
	v_mul_f32_e32 v157, v157, v51                              // 000000008C0C: 0B3A679D
	v_mul_f32_e32 v158, v158, v52                              // 000000008C10: 0B3C699E
	v_mul_f32_e32 v159, v159, v53                              // 000000008C14: 0B3E6B9F
	s_waitcnt vmcnt(28)                                        // 000000008C18: BF8C4F7C
	buffer_load_dwordx4 a[64:67], v42, s[12:15], 0 offen       // 000000008C1C: E05C1000 8083402A
	v_mul_f32_e32 v50, v160, v160                              // 000000008C24: 0A6541A0
	v_mul_f32_e32 v51, v161, v161                              // 000000008C28: 0A6743A1
	v_mul_f32_e32 v52, v162, v162                              // 000000008C2C: 0A6945A2
	v_mul_f32_e32 v53, v163, v163                              // 000000008C30: 0A6B47A3
	v_fma_f32 v50, v50, s77, v1                                // 000000008C34: D1CB0032 04049B32
	v_fma_f32 v51, v51, s77, v1                                // 000000008C3C: D1CB0033 04049B33
	v_fma_f32 v52, v52, s77, v1                                // 000000008C44: D1CB0034 04049B34
	v_fma_f32 v53, v53, s77, v1                                // 000000008C4C: D1CB0035 04049B35
	v_mul_f32_e32 v50, v50, v160                               // 000000008C54: 0A654132
	v_mul_f32_e32 v51, v51, v161                               // 000000008C58: 0A674333
	v_mul_f32_e32 v52, v52, v162                               // 000000008C5C: 0A694534
	v_mul_f32_e32 v53, v53, v163                               // 000000008C60: 0A6B4735
	v_mul_f32_e64 v50, v50, s6                                 // 000000008C64: D1050032 00000D32
	v_mul_f32_e64 v51, v51, s6                                 // 000000008C6C: D1050033 00000D33
	v_mul_f32_e64 v52, v52, s6                                 // 000000008C74: D1050034 00000D34
	v_mul_f32_e64 v53, v53, s6                                 // 000000008C7C: D1050035 00000D35
	v_exp_f32_e32 v50, v50                                     // 000000008C84: 7E644132
	v_exp_f32_e32 v51, v51                                     // 000000008C88: 7E664133
	v_exp_f32_e32 v52, v52                                     // 000000008C8C: 7E684134
	v_exp_f32_e32 v53, v53                                     // 000000008C90: 7E6A4135
	buffer_load_dwordx4 a[68:71], v43, s[12:15], 0 offen       // 000000008C94: E05C1000 8083442B
	v_add_f32_e64 v50, v50, 1.0                                // 000000008C9C: D1010032 0001E532
	v_add_f32_e64 v51, v51, 1.0                                // 000000008CA4: D1010033 0001E533
	v_add_f32_e64 v52, v52, 1.0                                // 000000008CAC: D1010034 0001E534
	v_add_f32_e64 v53, v53, 1.0                                // 000000008CB4: D1010035 0001E535
	v_rcp_f32_e32 v50, v50                                     // 000000008CBC: 7E644532
	v_rcp_f32_e32 v51, v51                                     // 000000008CC0: 7E664533
	v_rcp_f32_e32 v52, v52                                     // 000000008CC4: 7E684534
	v_rcp_f32_e32 v53, v53                                     // 000000008CC8: 7E6A4535
	v_mul_f32_e32 v160, v160, v50                              // 000000008CCC: 0B4065A0
	v_mul_f32_e32 v161, v161, v51                              // 000000008CD0: 0B4267A1
	v_mul_f32_e32 v162, v162, v52                              // 000000008CD4: 0B4469A2
	v_mul_f32_e32 v163, v163, v53                              // 000000008CD8: 0B466BA3
	buffer_load_dwordx4 a[72:75], v44, s[12:15], 0 offen       // 000000008CDC: E05C1000 8083482C
	v_mul_f32_e32 v50, v164, v164                              // 000000008CE4: 0A6549A4
	v_mul_f32_e32 v51, v165, v165                              // 000000008CE8: 0A674BA5
	v_mul_f32_e32 v52, v166, v166                              // 000000008CEC: 0A694DA6
	v_mul_f32_e32 v53, v167, v167                              // 000000008CF0: 0A6B4FA7
	v_fma_f32 v50, v50, s77, v1                                // 000000008CF4: D1CB0032 04049B32
	v_fma_f32 v51, v51, s77, v1                                // 000000008CFC: D1CB0033 04049B33
	v_fma_f32 v52, v52, s77, v1                                // 000000008D04: D1CB0034 04049B34
	v_fma_f32 v53, v53, s77, v1                                // 000000008D0C: D1CB0035 04049B35
	v_mul_f32_e32 v50, v50, v164                               // 000000008D14: 0A654932
	v_mul_f32_e32 v51, v51, v165                               // 000000008D18: 0A674B33
	v_mul_f32_e32 v52, v52, v166                               // 000000008D1C: 0A694D34
	v_mul_f32_e32 v53, v53, v167                               // 000000008D20: 0A6B4F35
	v_mul_f32_e64 v50, v50, s6                                 // 000000008D24: D1050032 00000D32
	v_mul_f32_e64 v51, v51, s6                                 // 000000008D2C: D1050033 00000D33
	v_mul_f32_e64 v52, v52, s6                                 // 000000008D34: D1050034 00000D34
	v_mul_f32_e64 v53, v53, s6                                 // 000000008D3C: D1050035 00000D35
	v_exp_f32_e32 v50, v50                                     // 000000008D44: 7E644132
	v_exp_f32_e32 v51, v51                                     // 000000008D48: 7E664133
	v_exp_f32_e32 v52, v52                                     // 000000008D4C: 7E684134
	v_exp_f32_e32 v53, v53                                     // 000000008D50: 7E6A4135
	buffer_load_dwordx4 a[76:79], v45, s[12:15], 0 offen       // 000000008D54: E05C1000 80834C2D
	s_add_u32 s12, s78, s12                                    // 000000008D5C: 800C0C4E
	s_addc_u32 s13, 0, s13                                     // 000000008D60: 820D0D80
	v_add_f32_e64 v50, v50, 1.0                                // 000000008D64: D1010032 0001E532
	v_add_f32_e64 v51, v51, 1.0                                // 000000008D6C: D1010033 0001E533
	v_add_f32_e64 v52, v52, 1.0                                // 000000008D74: D1010034 0001E534
	v_add_f32_e64 v53, v53, 1.0                                // 000000008D7C: D1010035 0001E535
	v_rcp_f32_e32 v50, v50                                     // 000000008D84: 7E644532
	v_rcp_f32_e32 v51, v51                                     // 000000008D88: 7E664533
	v_rcp_f32_e32 v52, v52                                     // 000000008D8C: 7E684534
	v_rcp_f32_e32 v53, v53                                     // 000000008D90: 7E6A4535
	v_mul_f32_e32 v164, v164, v50                              // 000000008D94: 0B4865A4
	v_mul_f32_e32 v165, v165, v51                              // 000000008D98: 0B4A67A5
	v_mul_f32_e32 v166, v166, v52                              // 000000008D9C: 0B4C69A6
	v_mul_f32_e32 v167, v167, v53                              // 000000008DA0: 0B4E6BA7
	s_waitcnt vmcnt(28)                                        // 000000008DA4: BF8C4F7C
	buffer_load_dwordx4 a[80:83], v42, s[12:15], 0 offen       // 000000008DA8: E05C1000 8083502A
	v_mul_f32_e32 v50, v168, v168                              // 000000008DB0: 0A6551A8
	v_mul_f32_e32 v51, v169, v169                              // 000000008DB4: 0A6753A9
	v_mul_f32_e32 v52, v170, v170                              // 000000008DB8: 0A6955AA
	v_mul_f32_e32 v53, v171, v171                              // 000000008DBC: 0A6B57AB
	v_fma_f32 v50, v50, s77, v1                                // 000000008DC0: D1CB0032 04049B32
	v_fma_f32 v51, v51, s77, v1                                // 000000008DC8: D1CB0033 04049B33
	v_fma_f32 v52, v52, s77, v1                                // 000000008DD0: D1CB0034 04049B34
	v_fma_f32 v53, v53, s77, v1                                // 000000008DD8: D1CB0035 04049B35
	v_mul_f32_e32 v50, v50, v168                               // 000000008DE0: 0A655132
	v_mul_f32_e32 v51, v51, v169                               // 000000008DE4: 0A675333
	v_mul_f32_e32 v52, v52, v170                               // 000000008DE8: 0A695534
	v_mul_f32_e32 v53, v53, v171                               // 000000008DEC: 0A6B5735
	v_mul_f32_e64 v50, v50, s6                                 // 000000008DF0: D1050032 00000D32
	v_mul_f32_e64 v51, v51, s6                                 // 000000008DF8: D1050033 00000D33
	v_mul_f32_e64 v52, v52, s6                                 // 000000008E00: D1050034 00000D34
	v_mul_f32_e64 v53, v53, s6                                 // 000000008E08: D1050035 00000D35
	v_exp_f32_e32 v50, v50                                     // 000000008E10: 7E644132
	v_exp_f32_e32 v51, v51                                     // 000000008E14: 7E664133
	v_exp_f32_e32 v52, v52                                     // 000000008E18: 7E684134
	v_exp_f32_e32 v53, v53                                     // 000000008E1C: 7E6A4135
	buffer_load_dwordx4 a[84:87], v43, s[12:15], 0 offen       // 000000008E20: E05C1000 8083542B
	v_add_f32_e64 v50, v50, 1.0                                // 000000008E28: D1010032 0001E532
	v_add_f32_e64 v51, v51, 1.0                                // 000000008E30: D1010033 0001E533
	v_add_f32_e64 v52, v52, 1.0                                // 000000008E38: D1010034 0001E534
	v_add_f32_e64 v53, v53, 1.0                                // 000000008E40: D1010035 0001E535
	v_rcp_f32_e32 v50, v50                                     // 000000008E48: 7E644532
	v_rcp_f32_e32 v51, v51                                     // 000000008E4C: 7E664533
	v_rcp_f32_e32 v52, v52                                     // 000000008E50: 7E684534
	v_rcp_f32_e32 v53, v53                                     // 000000008E54: 7E6A4535
	v_mul_f32_e32 v168, v168, v50                              // 000000008E58: 0B5065A8
	v_mul_f32_e32 v169, v169, v51                              // 000000008E5C: 0B5267A9
	v_mul_f32_e32 v170, v170, v52                              // 000000008E60: 0B5469AA
	v_mul_f32_e32 v171, v171, v53                              // 000000008E64: 0B566BAB
	buffer_load_dwordx4 a[88:91], v44, s[12:15], 0 offen       // 000000008E68: E05C1000 8083582C
	v_mul_f32_e32 v50, v172, v172                              // 000000008E70: 0A6559AC
	v_mul_f32_e32 v51, v173, v173                              // 000000008E74: 0A675BAD
	v_mul_f32_e32 v52, v174, v174                              // 000000008E78: 0A695DAE
	v_mul_f32_e32 v53, v175, v175                              // 000000008E7C: 0A6B5FAF
	v_fma_f32 v50, v50, s77, v1                                // 000000008E80: D1CB0032 04049B32
	v_fma_f32 v51, v51, s77, v1                                // 000000008E88: D1CB0033 04049B33
	v_fma_f32 v52, v52, s77, v1                                // 000000008E90: D1CB0034 04049B34
	v_fma_f32 v53, v53, s77, v1                                // 000000008E98: D1CB0035 04049B35
	v_mul_f32_e32 v50, v50, v172                               // 000000008EA0: 0A655932
	v_mul_f32_e32 v51, v51, v173                               // 000000008EA4: 0A675B33
	v_mul_f32_e32 v52, v52, v174                               // 000000008EA8: 0A695D34
	v_mul_f32_e32 v53, v53, v175                               // 000000008EAC: 0A6B5F35
	v_mul_f32_e64 v50, v50, s6                                 // 000000008EB0: D1050032 00000D32
	v_mul_f32_e64 v51, v51, s6                                 // 000000008EB8: D1050033 00000D33
	v_mul_f32_e64 v52, v52, s6                                 // 000000008EC0: D1050034 00000D34
	v_mul_f32_e64 v53, v53, s6                                 // 000000008EC8: D1050035 00000D35
	v_exp_f32_e32 v50, v50                                     // 000000008ED0: 7E644132
	v_exp_f32_e32 v51, v51                                     // 000000008ED4: 7E664133
	v_exp_f32_e32 v52, v52                                     // 000000008ED8: 7E684134
	v_exp_f32_e32 v53, v53                                     // 000000008EDC: 7E6A4135
	buffer_load_dwordx4 a[92:95], v45, s[12:15], 0 offen       // 000000008EE0: E05C1000 80835C2D
	s_add_u32 s12, s78, s12                                    // 000000008EE8: 800C0C4E
	s_addc_u32 s13, 0, s13                                     // 000000008EEC: 820D0D80
	v_add_f32_e64 v50, v50, 1.0                                // 000000008EF0: D1010032 0001E532
	v_add_f32_e64 v51, v51, 1.0                                // 000000008EF8: D1010033 0001E533
	v_add_f32_e64 v52, v52, 1.0                                // 000000008F00: D1010034 0001E534
	v_add_f32_e64 v53, v53, 1.0                                // 000000008F08: D1010035 0001E535
	v_rcp_f32_e32 v50, v50                                     // 000000008F10: 7E644532
	v_rcp_f32_e32 v51, v51                                     // 000000008F14: 7E664533
	v_rcp_f32_e32 v52, v52                                     // 000000008F18: 7E684534
	v_rcp_f32_e32 v53, v53                                     // 000000008F1C: 7E6A4535
	v_mul_f32_e32 v172, v172, v50                              // 000000008F20: 0B5865AC
	v_mul_f32_e32 v173, v173, v51                              // 000000008F24: 0B5A67AD
	v_mul_f32_e32 v174, v174, v52                              // 000000008F28: 0B5C69AE
	v_mul_f32_e32 v175, v175, v53                              // 000000008F2C: 0B5E6BAF
	s_waitcnt vmcnt(28)                                        // 000000008F30: BF8C4F7C
	buffer_load_dwordx4 a[96:99], v42, s[12:15], 0 offen       // 000000008F34: E05C1000 8083602A
	v_mul_f32_e32 v50, v176, v176                              // 000000008F3C: 0A6561B0
	v_mul_f32_e32 v51, v177, v177                              // 000000008F40: 0A6763B1
	v_mul_f32_e32 v52, v178, v178                              // 000000008F44: 0A6965B2
	v_mul_f32_e32 v53, v179, v179                              // 000000008F48: 0A6B67B3
	v_fma_f32 v50, v50, s77, v1                                // 000000008F4C: D1CB0032 04049B32
	v_fma_f32 v51, v51, s77, v1                                // 000000008F54: D1CB0033 04049B33
	v_fma_f32 v52, v52, s77, v1                                // 000000008F5C: D1CB0034 04049B34
	v_fma_f32 v53, v53, s77, v1                                // 000000008F64: D1CB0035 04049B35
	v_mul_f32_e32 v50, v50, v176                               // 000000008F6C: 0A656132
	v_mul_f32_e32 v51, v51, v177                               // 000000008F70: 0A676333
	v_mul_f32_e32 v52, v52, v178                               // 000000008F74: 0A696534
	v_mul_f32_e32 v53, v53, v179                               // 000000008F78: 0A6B6735
	v_mul_f32_e64 v50, v50, s6                                 // 000000008F7C: D1050032 00000D32
	v_mul_f32_e64 v51, v51, s6                                 // 000000008F84: D1050033 00000D33
	v_mul_f32_e64 v52, v52, s6                                 // 000000008F8C: D1050034 00000D34
	v_mul_f32_e64 v53, v53, s6                                 // 000000008F94: D1050035 00000D35
	v_exp_f32_e32 v50, v50                                     // 000000008F9C: 7E644132
	v_exp_f32_e32 v51, v51                                     // 000000008FA0: 7E664133
	v_exp_f32_e32 v52, v52                                     // 000000008FA4: 7E684134
	v_exp_f32_e32 v53, v53                                     // 000000008FA8: 7E6A4135
	buffer_load_dwordx4 a[100:103], v43, s[12:15], 0 offen     // 000000008FAC: E05C1000 8083642B
	v_add_f32_e64 v50, v50, 1.0                                // 000000008FB4: D1010032 0001E532
	v_add_f32_e64 v51, v51, 1.0                                // 000000008FBC: D1010033 0001E533
	v_add_f32_e64 v52, v52, 1.0                                // 000000008FC4: D1010034 0001E534
	v_add_f32_e64 v53, v53, 1.0                                // 000000008FCC: D1010035 0001E535
	v_rcp_f32_e32 v50, v50                                     // 000000008FD4: 7E644532
	v_rcp_f32_e32 v51, v51                                     // 000000008FD8: 7E664533
	v_rcp_f32_e32 v52, v52                                     // 000000008FDC: 7E684534
	v_rcp_f32_e32 v53, v53                                     // 000000008FE0: 7E6A4535
	v_mul_f32_e32 v176, v176, v50                              // 000000008FE4: 0B6065B0
	v_mul_f32_e32 v177, v177, v51                              // 000000008FE8: 0B6267B1
	v_mul_f32_e32 v178, v178, v52                              // 000000008FEC: 0B6469B2
	v_mul_f32_e32 v179, v179, v53                              // 000000008FF0: 0B666BB3
	buffer_load_dwordx4 a[104:107], v44, s[12:15], 0 offen     // 000000008FF4: E05C1000 8083682C
	v_mul_f32_e32 v50, v180, v180                              // 000000008FFC: 0A6569B4
	v_mul_f32_e32 v51, v181, v181                              // 000000009000: 0A676BB5
	v_mul_f32_e32 v52, v182, v182                              // 000000009004: 0A696DB6
	v_mul_f32_e32 v53, v183, v183                              // 000000009008: 0A6B6FB7
	v_fma_f32 v50, v50, s77, v1                                // 00000000900C: D1CB0032 04049B32
	v_fma_f32 v51, v51, s77, v1                                // 000000009014: D1CB0033 04049B33
	v_fma_f32 v52, v52, s77, v1                                // 00000000901C: D1CB0034 04049B34
	v_fma_f32 v53, v53, s77, v1                                // 000000009024: D1CB0035 04049B35
	v_mul_f32_e32 v50, v50, v180                               // 00000000902C: 0A656932
	v_mul_f32_e32 v51, v51, v181                               // 000000009030: 0A676B33
	v_mul_f32_e32 v52, v52, v182                               // 000000009034: 0A696D34
	v_mul_f32_e32 v53, v53, v183                               // 000000009038: 0A6B6F35
	v_mul_f32_e64 v50, v50, s6                                 // 00000000903C: D1050032 00000D32
	v_mul_f32_e64 v51, v51, s6                                 // 000000009044: D1050033 00000D33
	v_mul_f32_e64 v52, v52, s6                                 // 00000000904C: D1050034 00000D34
	v_mul_f32_e64 v53, v53, s6                                 // 000000009054: D1050035 00000D35
	v_exp_f32_e32 v50, v50                                     // 00000000905C: 7E644132
	v_exp_f32_e32 v51, v51                                     // 000000009060: 7E664133
	v_exp_f32_e32 v52, v52                                     // 000000009064: 7E684134
	v_exp_f32_e32 v53, v53                                     // 000000009068: 7E6A4135
	buffer_load_dwordx4 a[108:111], v45, s[12:15], 0 offen     // 00000000906C: E05C1000 80836C2D
	s_add_u32 s12, s78, s12                                    // 000000009074: 800C0C4E
	s_addc_u32 s13, 0, s13                                     // 000000009078: 820D0D80
	v_add_f32_e64 v50, v50, 1.0                                // 00000000907C: D1010032 0001E532
	v_add_f32_e64 v51, v51, 1.0                                // 000000009084: D1010033 0001E533
	v_add_f32_e64 v52, v52, 1.0                                // 00000000908C: D1010034 0001E534
	v_add_f32_e64 v53, v53, 1.0                                // 000000009094: D1010035 0001E535
	v_rcp_f32_e32 v50, v50                                     // 00000000909C: 7E644532
	v_rcp_f32_e32 v51, v51                                     // 0000000090A0: 7E664533
	v_rcp_f32_e32 v52, v52                                     // 0000000090A4: 7E684534
	v_rcp_f32_e32 v53, v53                                     // 0000000090A8: 7E6A4535
	v_mul_f32_e32 v180, v180, v50                              // 0000000090AC: 0B6865B4
	v_mul_f32_e32 v181, v181, v51                              // 0000000090B0: 0B6A67B5
	v_mul_f32_e32 v182, v182, v52                              // 0000000090B4: 0B6C69B6
	v_mul_f32_e32 v183, v183, v53                              // 0000000090B8: 0B6E6BB7
	s_waitcnt vmcnt(28)                                        // 0000000090BC: BF8C4F7C
	buffer_load_dwordx4 a[112:115], v42, s[12:15], 0 offen     // 0000000090C0: E05C1000 8083702A
	v_mul_f32_e32 v50, v184, v184                              // 0000000090C8: 0A6571B8
	v_mul_f32_e32 v51, v185, v185                              // 0000000090CC: 0A6773B9
	v_mul_f32_e32 v52, v186, v186                              // 0000000090D0: 0A6975BA
	v_mul_f32_e32 v53, v187, v187                              // 0000000090D4: 0A6B77BB
	v_fma_f32 v50, v50, s77, v1                                // 0000000090D8: D1CB0032 04049B32
	v_fma_f32 v51, v51, s77, v1                                // 0000000090E0: D1CB0033 04049B33
	v_fma_f32 v52, v52, s77, v1                                // 0000000090E8: D1CB0034 04049B34
	v_fma_f32 v53, v53, s77, v1                                // 0000000090F0: D1CB0035 04049B35
	v_mul_f32_e32 v50, v50, v184                               // 0000000090F8: 0A657132
	v_mul_f32_e32 v51, v51, v185                               // 0000000090FC: 0A677333
	v_mul_f32_e32 v52, v52, v186                               // 000000009100: 0A697534
	v_mul_f32_e32 v53, v53, v187                               // 000000009104: 0A6B7735
	v_mul_f32_e64 v50, v50, s6                                 // 000000009108: D1050032 00000D32
	v_mul_f32_e64 v51, v51, s6                                 // 000000009110: D1050033 00000D33
	v_mul_f32_e64 v52, v52, s6                                 // 000000009118: D1050034 00000D34
	v_mul_f32_e64 v53, v53, s6                                 // 000000009120: D1050035 00000D35
	v_exp_f32_e32 v50, v50                                     // 000000009128: 7E644132
	v_exp_f32_e32 v51, v51                                     // 00000000912C: 7E664133
	v_exp_f32_e32 v52, v52                                     // 000000009130: 7E684134
	v_exp_f32_e32 v53, v53                                     // 000000009134: 7E6A4135
	buffer_load_dwordx4 a[116:119], v43, s[12:15], 0 offen     // 000000009138: E05C1000 8083742B
	v_add_f32_e64 v50, v50, 1.0                                // 000000009140: D1010032 0001E532
	v_add_f32_e64 v51, v51, 1.0                                // 000000009148: D1010033 0001E533
	v_add_f32_e64 v52, v52, 1.0                                // 000000009150: D1010034 0001E534
	v_add_f32_e64 v53, v53, 1.0                                // 000000009158: D1010035 0001E535
	v_rcp_f32_e32 v50, v50                                     // 000000009160: 7E644532
	v_rcp_f32_e32 v51, v51                                     // 000000009164: 7E664533
	v_rcp_f32_e32 v52, v52                                     // 000000009168: 7E684534
	v_rcp_f32_e32 v53, v53                                     // 00000000916C: 7E6A4535
	v_mul_f32_e32 v184, v184, v50                              // 000000009170: 0B7065B8
	v_mul_f32_e32 v185, v185, v51                              // 000000009174: 0B7267B9
	v_mul_f32_e32 v186, v186, v52                              // 000000009178: 0B7469BA
	v_mul_f32_e32 v187, v187, v53                              // 00000000917C: 0B766BBB
	buffer_load_dwordx4 a[120:123], v44, s[12:15], 0 offen     // 000000009180: E05C1000 8083782C
	v_mul_f32_e32 v50, v188, v188                              // 000000009188: 0A6579BC
	v_mul_f32_e32 v51, v189, v189                              // 00000000918C: 0A677BBD
	v_mul_f32_e32 v52, v190, v190                              // 000000009190: 0A697DBE
	v_mul_f32_e32 v53, v191, v191                              // 000000009194: 0A6B7FBF
	v_fma_f32 v50, v50, s77, v1                                // 000000009198: D1CB0032 04049B32
	v_fma_f32 v51, v51, s77, v1                                // 0000000091A0: D1CB0033 04049B33
	v_fma_f32 v52, v52, s77, v1                                // 0000000091A8: D1CB0034 04049B34
	v_fma_f32 v53, v53, s77, v1                                // 0000000091B0: D1CB0035 04049B35
	v_mul_f32_e32 v50, v50, v188                               // 0000000091B8: 0A657932
	v_mul_f32_e32 v51, v51, v189                               // 0000000091BC: 0A677B33
	v_mul_f32_e32 v52, v52, v190                               // 0000000091C0: 0A697D34
	v_mul_f32_e32 v53, v53, v191                               // 0000000091C4: 0A6B7F35
	v_mul_f32_e64 v50, v50, s6                                 // 0000000091C8: D1050032 00000D32
	v_mul_f32_e64 v51, v51, s6                                 // 0000000091D0: D1050033 00000D33
	v_mul_f32_e64 v52, v52, s6                                 // 0000000091D8: D1050034 00000D34
	v_mul_f32_e64 v53, v53, s6                                 // 0000000091E0: D1050035 00000D35
	v_exp_f32_e32 v50, v50                                     // 0000000091E8: 7E644132
	v_exp_f32_e32 v51, v51                                     // 0000000091EC: 7E664133
	v_exp_f32_e32 v52, v52                                     // 0000000091F0: 7E684134
	v_exp_f32_e32 v53, v53                                     // 0000000091F4: 7E6A4135
	buffer_load_dwordx4 a[124:127], v45, s[12:15], 0 offen     // 0000000091F8: E05C1000 80837C2D
	v_add_f32_e64 v50, v50, 1.0                                // 000000009200: D1010032 0001E532
	v_add_f32_e64 v51, v51, 1.0                                // 000000009208: D1010033 0001E533
	v_add_f32_e64 v52, v52, 1.0                                // 000000009210: D1010034 0001E534
	v_add_f32_e64 v53, v53, 1.0                                // 000000009218: D1010035 0001E535
	v_rcp_f32_e32 v50, v50                                     // 000000009220: 7E644532
	v_rcp_f32_e32 v51, v51                                     // 000000009224: 7E664533
	v_rcp_f32_e32 v52, v52                                     // 000000009228: 7E684534
	v_rcp_f32_e32 v53, v53                                     // 00000000922C: 7E6A4535
	v_mul_f32_e32 v188, v188, v50                              // 000000009230: 0B7865BC
	v_mul_f32_e32 v189, v189, v51                              // 000000009234: 0B7A67BD
	v_mul_f32_e32 v190, v190, v52                              // 000000009238: 0B7C69BE
	v_mul_f32_e32 v191, v191, v53                              // 00000000923C: 0B7E6BBF
	v_mul_f32_dpp v128, v18, v128 row_newbcast:0 row_mask:0xf bank_mask:0xf// 000000009240: 0B0100FA FF015012
	v_mul_f32_dpp v129, v18, v129 row_newbcast:1 row_mask:0xf bank_mask:0xf// 000000009248: 0B0302FA FF015112
	v_mul_f32_dpp v130, v18, v130 row_newbcast:2 row_mask:0xf bank_mask:0xf// 000000009250: 0B0504FA FF015212
	v_mul_f32_dpp v131, v18, v131 row_newbcast:3 row_mask:0xf bank_mask:0xf// 000000009258: 0B0706FA FF015312
	v_mul_f32_dpp v132, v18, v132 row_newbcast:0 row_mask:0xf bank_mask:0xf// 000000009260: 0B0908FA FF015012
	v_mul_f32_dpp v133, v18, v133 row_newbcast:1 row_mask:0xf bank_mask:0xf// 000000009268: 0B0B0AFA FF015112
	v_mul_f32_dpp v134, v18, v134 row_newbcast:2 row_mask:0xf bank_mask:0xf// 000000009270: 0B0D0CFA FF015212
	v_mul_f32_dpp v135, v18, v135 row_newbcast:3 row_mask:0xf bank_mask:0xf// 000000009278: 0B0F0EFA FF015312
	v_mul_f32_dpp v136, v18, v136 row_newbcast:4 row_mask:0xf bank_mask:0xf// 000000009280: 0B1110FA FF015412
	v_mul_f32_dpp v137, v18, v137 row_newbcast:5 row_mask:0xf bank_mask:0xf// 000000009288: 0B1312FA FF015512
	v_mul_f32_dpp v138, v18, v138 row_newbcast:6 row_mask:0xf bank_mask:0xf// 000000009290: 0B1514FA FF015612
	v_mul_f32_dpp v139, v18, v139 row_newbcast:7 row_mask:0xf bank_mask:0xf// 000000009298: 0B1716FA FF015712
	v_mul_f32_dpp v140, v18, v140 row_newbcast:4 row_mask:0xf bank_mask:0xf// 0000000092A0: 0B1918FA FF015412
	v_mul_f32_dpp v141, v18, v141 row_newbcast:5 row_mask:0xf bank_mask:0xf// 0000000092A8: 0B1B1AFA FF015512
	v_mul_f32_dpp v142, v18, v142 row_newbcast:6 row_mask:0xf bank_mask:0xf// 0000000092B0: 0B1D1CFA FF015612
	v_mul_f32_dpp v143, v18, v143 row_newbcast:7 row_mask:0xf bank_mask:0xf// 0000000092B8: 0B1F1EFA FF015712
	v_mul_f32_dpp v144, v18, v144 row_newbcast:8 row_mask:0xf bank_mask:0xf// 0000000092C0: 0B2120FA FF015812
	v_mul_f32_dpp v145, v18, v145 row_newbcast:9 row_mask:0xf bank_mask:0xf// 0000000092C8: 0B2322FA FF015912
	v_mul_f32_dpp v146, v18, v146 row_newbcast:10 row_mask:0xf bank_mask:0xf// 0000000092D0: 0B2524FA FF015A12
	v_mul_f32_dpp v147, v18, v147 row_newbcast:11 row_mask:0xf bank_mask:0xf// 0000000092D8: 0B2726FA FF015B12
	v_mul_f32_dpp v148, v18, v148 row_newbcast:8 row_mask:0xf bank_mask:0xf// 0000000092E0: 0B2928FA FF015812
	v_mul_f32_dpp v149, v18, v149 row_newbcast:9 row_mask:0xf bank_mask:0xf// 0000000092E8: 0B2B2AFA FF015912
	v_mul_f32_dpp v150, v18, v150 row_newbcast:10 row_mask:0xf bank_mask:0xf// 0000000092F0: 0B2D2CFA FF015A12
	v_mul_f32_dpp v151, v18, v151 row_newbcast:11 row_mask:0xf bank_mask:0xf// 0000000092F8: 0B2F2EFA FF015B12
	v_mul_f32_dpp v152, v18, v152 row_newbcast:12 row_mask:0xf bank_mask:0xf// 000000009300: 0B3130FA FF015C12
	v_mul_f32_dpp v153, v18, v153 row_newbcast:13 row_mask:0xf bank_mask:0xf// 000000009308: 0B3332FA FF015D12
	v_mul_f32_dpp v154, v18, v154 row_newbcast:14 row_mask:0xf bank_mask:0xf// 000000009310: 0B3534FA FF015E12
	v_mul_f32_dpp v155, v18, v155 row_newbcast:15 row_mask:0xf bank_mask:0xf// 000000009318: 0B3736FA FF015F12
	v_mul_f32_dpp v156, v18, v156 row_newbcast:12 row_mask:0xf bank_mask:0xf// 000000009320: 0B3938FA FF015C12
	v_mul_f32_dpp v157, v18, v157 row_newbcast:13 row_mask:0xf bank_mask:0xf// 000000009328: 0B3B3AFA FF015D12
	v_mul_f32_dpp v158, v18, v158 row_newbcast:14 row_mask:0xf bank_mask:0xf// 000000009330: 0B3D3CFA FF015E12
	v_mul_f32_dpp v159, v18, v159 row_newbcast:15 row_mask:0xf bank_mask:0xf// 000000009338: 0B3F3EFA FF015F12
	v_mul_f32_dpp v160, v19, v160 row_newbcast:0 row_mask:0xf bank_mask:0xf// 000000009340: 0B4140FA FF015013
	v_mul_f32_dpp v161, v19, v161 row_newbcast:1 row_mask:0xf bank_mask:0xf// 000000009348: 0B4342FA FF015113
	v_mul_f32_dpp v162, v19, v162 row_newbcast:2 row_mask:0xf bank_mask:0xf// 000000009350: 0B4544FA FF015213
	v_mul_f32_dpp v163, v19, v163 row_newbcast:3 row_mask:0xf bank_mask:0xf// 000000009358: 0B4746FA FF015313
	v_mul_f32_dpp v164, v19, v164 row_newbcast:0 row_mask:0xf bank_mask:0xf// 000000009360: 0B4948FA FF015013
	v_mul_f32_dpp v165, v19, v165 row_newbcast:1 row_mask:0xf bank_mask:0xf// 000000009368: 0B4B4AFA FF015113
	v_mul_f32_dpp v166, v19, v166 row_newbcast:2 row_mask:0xf bank_mask:0xf// 000000009370: 0B4D4CFA FF015213
	v_mul_f32_dpp v167, v19, v167 row_newbcast:3 row_mask:0xf bank_mask:0xf// 000000009378: 0B4F4EFA FF015313
	v_mul_f32_dpp v168, v19, v168 row_newbcast:4 row_mask:0xf bank_mask:0xf// 000000009380: 0B5150FA FF015413
	v_mul_f32_dpp v169, v19, v169 row_newbcast:5 row_mask:0xf bank_mask:0xf// 000000009388: 0B5352FA FF015513
	v_mul_f32_dpp v170, v19, v170 row_newbcast:6 row_mask:0xf bank_mask:0xf// 000000009390: 0B5554FA FF015613
	v_mul_f32_dpp v171, v19, v171 row_newbcast:7 row_mask:0xf bank_mask:0xf// 000000009398: 0B5756FA FF015713
	v_mul_f32_dpp v172, v19, v172 row_newbcast:4 row_mask:0xf bank_mask:0xf// 0000000093A0: 0B5958FA FF015413
	v_mul_f32_dpp v173, v19, v173 row_newbcast:5 row_mask:0xf bank_mask:0xf// 0000000093A8: 0B5B5AFA FF015513
	v_mul_f32_dpp v174, v19, v174 row_newbcast:6 row_mask:0xf bank_mask:0xf// 0000000093B0: 0B5D5CFA FF015613
	v_mul_f32_dpp v175, v19, v175 row_newbcast:7 row_mask:0xf bank_mask:0xf// 0000000093B8: 0B5F5EFA FF015713
	v_mul_f32_dpp v176, v19, v176 row_newbcast:8 row_mask:0xf bank_mask:0xf// 0000000093C0: 0B6160FA FF015813
	v_mul_f32_dpp v177, v19, v177 row_newbcast:9 row_mask:0xf bank_mask:0xf// 0000000093C8: 0B6362FA FF015913
	v_mul_f32_dpp v178, v19, v178 row_newbcast:10 row_mask:0xf bank_mask:0xf// 0000000093D0: 0B6564FA FF015A13
	v_mul_f32_dpp v179, v19, v179 row_newbcast:11 row_mask:0xf bank_mask:0xf// 0000000093D8: 0B6766FA FF015B13
	v_mul_f32_dpp v180, v19, v180 row_newbcast:8 row_mask:0xf bank_mask:0xf// 0000000093E0: 0B6968FA FF015813
	v_mul_f32_dpp v181, v19, v181 row_newbcast:9 row_mask:0xf bank_mask:0xf// 0000000093E8: 0B6B6AFA FF015913
	v_mul_f32_dpp v182, v19, v182 row_newbcast:10 row_mask:0xf bank_mask:0xf// 0000000093F0: 0B6D6CFA FF015A13
	v_mul_f32_dpp v183, v19, v183 row_newbcast:11 row_mask:0xf bank_mask:0xf// 0000000093F8: 0B6F6EFA FF015B13
	v_mul_f32_dpp v184, v19, v184 row_newbcast:12 row_mask:0xf bank_mask:0xf// 000000009400: 0B7170FA FF015C13
	v_mul_f32_dpp v185, v19, v185 row_newbcast:13 row_mask:0xf bank_mask:0xf// 000000009408: 0B7372FA FF015D13
	v_mul_f32_dpp v186, v19, v186 row_newbcast:14 row_mask:0xf bank_mask:0xf// 000000009410: 0B7574FA FF015E13
	v_mul_f32_dpp v187, v19, v187 row_newbcast:15 row_mask:0xf bank_mask:0xf// 000000009418: 0B7776FA FF015F13
	v_mul_f32_dpp v188, v19, v188 row_newbcast:12 row_mask:0xf bank_mask:0xf// 000000009420: 0B7978FA FF015C13
	v_mul_f32_dpp v189, v19, v189 row_newbcast:13 row_mask:0xf bank_mask:0xf// 000000009428: 0B7B7AFA FF015D13
	v_mul_f32_dpp v190, v19, v190 row_newbcast:14 row_mask:0xf bank_mask:0xf// 000000009430: 0B7D7CFA FF015E13
	v_mul_f32_dpp v191, v19, v191 row_newbcast:15 row_mask:0xf bank_mask:0xf// 000000009438: 0B7F7EFA FF015F13
	buffer_load_dword v12, v5, s[16:19], 0 offen               // 000000009440: E0501000 80040C05
	v_mov_b32_e32 v22, 0x358637bd                              // 000000009448: 7E2C02FF 358637BD
	v_mov_b32_e32 v23, 0x358637bd                              // 000000009450: 7E2E02FF 358637BD
	v_max3_f32 v22, |v128|, |v129|, v22                        // 000000009458: D1D30316 045B0380
	v_max3_f32 v22, |v130|, |v131|, v22                        // 000000009460: D1D30316 045B0782
	v_max3_f32 v23, |v132|, |v133|, v23                        // 000000009468: D1D30317 045F0B84
	v_max3_f32 v23, |v134|, |v135|, v23                        // 000000009470: D1D30317 045F0F86
	v_max3_f32 v22, |v136|, |v137|, v22                        // 000000009478: D1D30316 045B1388
	v_max3_f32 v22, |v138|, |v139|, v22                        // 000000009480: D1D30316 045B178A
	v_max3_f32 v23, |v140|, |v141|, v23                        // 000000009488: D1D30317 045F1B8C
	v_max3_f32 v23, |v142|, |v143|, v23                        // 000000009490: D1D30317 045F1F8E
	v_max3_f32 v22, |v144|, |v145|, v22                        // 000000009498: D1D30316 045B2390
	v_max3_f32 v22, |v146|, |v147|, v22                        // 0000000094A0: D1D30316 045B2792
	v_max3_f32 v23, |v148|, |v149|, v23                        // 0000000094A8: D1D30317 045F2B94
	v_max3_f32 v23, |v150|, |v151|, v23                        // 0000000094B0: D1D30317 045F2F96
	v_max3_f32 v22, |v152|, |v153|, v22                        // 0000000094B8: D1D30316 045B3398
	v_max3_f32 v22, |v154|, |v155|, v22                        // 0000000094C0: D1D30316 045B379A
	v_max3_f32 v23, |v156|, |v157|, v23                        // 0000000094C8: D1D30317 045F3B9C
	v_max3_f32 v23, |v158|, |v159|, v23                        // 0000000094D0: D1D30317 045F3F9E
	v_max3_f32 v22, |v160|, |v161|, v22                        // 0000000094D8: D1D30316 045B43A0
	v_max3_f32 v22, |v162|, |v163|, v22                        // 0000000094E0: D1D30316 045B47A2
	v_max3_f32 v23, |v164|, |v165|, v23                        // 0000000094E8: D1D30317 045F4BA4
	v_max3_f32 v23, |v166|, |v167|, v23                        // 0000000094F0: D1D30317 045F4FA6
	v_max3_f32 v22, |v168|, |v169|, v22                        // 0000000094F8: D1D30316 045B53A8
	v_max3_f32 v22, |v170|, |v171|, v22                        // 000000009500: D1D30316 045B57AA
	v_max3_f32 v23, |v172|, |v173|, v23                        // 000000009508: D1D30317 045F5BAC
	v_max3_f32 v23, |v174|, |v175|, v23                        // 000000009510: D1D30317 045F5FAE
	v_max3_f32 v22, |v176|, |v177|, v22                        // 000000009518: D1D30316 045B63B0
	v_max3_f32 v22, |v178|, |v179|, v22                        // 000000009520: D1D30316 045B67B2
	v_max3_f32 v23, |v180|, |v181|, v23                        // 000000009528: D1D30317 045F6BB4
	v_max3_f32 v23, |v182|, |v183|, v23                        // 000000009530: D1D30317 045F6FB6
	v_max3_f32 v22, |v184|, |v185|, v22                        // 000000009538: D1D30316 045B73B8
	v_max3_f32 v22, |v186|, |v187|, v22                        // 000000009540: D1D30316 045B77BA
	v_max3_f32 v23, |v188|, |v189|, v23                        // 000000009548: D1D30317 045F7BBC
	v_max3_f32 v23, |v190|, |v191|, v23                        // 000000009550: D1D30317 045F7FBE
	v_lshlrev_b32_e32 v50, 3, v0                               // 000000009558: 24640083
	s_mul_i32 s60, 0x200, s7                                   // 00000000955C: 923C07FF 00000200
	v_add_u32_e32 v50, s60, v50                                // 000000009564: 6864643C
	ds_write_b64 v50, v[22:23] offset:16640                    // 000000009568: D89A4100 00001632
	s_waitcnt lgkmcnt(0)                                       // 000000009570: BF8CC07F
	s_barrier                                                  // 000000009574: BF8A0000
	v_and_b32_e32 v50, 15, v0                                  // 000000009578: 2664008F
	v_lshlrev_b32_e32 v50, 3, v50                              // 00000000957C: 24646483
	ds_read_b64 v[96:97], v50 offset:16640                     // 000000009580: D8EC4100 60000032
	ds_read_b64 v[98:99], v50 offset:16768                     // 000000009588: D8EC4180 62000032
	ds_read_b64 v[100:101], v50 offset:16896                   // 000000009590: D8EC4200 64000032
	ds_read_b64 v[102:103], v50 offset:17024                   // 000000009598: D8EC4280 66000032
	ds_read_b64 v[104:105], v50 offset:17152                   // 0000000095A0: D8EC4300 68000032
	ds_read_b64 v[106:107], v50 offset:17280                   // 0000000095A8: D8EC4380 6A000032
	ds_read_b64 v[108:109], v50 offset:17408                   // 0000000095B0: D8EC4400 6C000032
	ds_read_b64 v[110:111], v50 offset:17536                   // 0000000095B8: D8EC4480 6E000032
	ds_read_b64 v[112:113], v50 offset:17664                   // 0000000095C0: D8EC4500 70000032
	ds_read_b64 v[114:115], v50 offset:17792                   // 0000000095C8: D8EC4580 72000032
	ds_read_b64 v[116:117], v50 offset:17920                   // 0000000095D0: D8EC4600 74000032
	ds_read_b64 v[118:119], v50 offset:18048                   // 0000000095D8: D8EC4680 76000032
	ds_read_b64 v[120:121], v50 offset:18176                   // 0000000095E0: D8EC4700 78000032
	ds_read_b64 v[122:123], v50 offset:18304                   // 0000000095E8: D8EC4780 7A000032
	ds_read_b64 v[124:125], v50 offset:18432                   // 0000000095F0: D8EC4800 7C000032
	ds_read_b64 v[126:127], v50 offset:18560                   // 0000000095F8: D8EC4880 7E000032
	s_waitcnt lgkmcnt(0)                                       // 000000009600: BF8CC07F
	v_max3_f32 v22, |v96|, |v98|, v22                          // 000000009604: D1D30316 045AC560
	v_max3_f32 v23, |v97|, |v99|, v23                          // 00000000960C: D1D30317 045EC761
	v_max3_f32 v22, |v100|, |v102|, v22                        // 000000009614: D1D30316 045ACD64
	v_max3_f32 v23, |v101|, |v103|, v23                        // 00000000961C: D1D30317 045ECF65
	v_max3_f32 v22, |v104|, |v106|, v22                        // 000000009624: D1D30316 045AD568
	v_max3_f32 v23, |v105|, |v107|, v23                        // 00000000962C: D1D30317 045ED769
	v_max3_f32 v22, |v108|, |v110|, v22                        // 000000009634: D1D30316 045ADD6C
	v_max3_f32 v23, |v109|, |v111|, v23                        // 00000000963C: D1D30317 045EDF6D
	v_max3_f32 v22, |v112|, |v114|, v22                        // 000000009644: D1D30316 045AE570
	v_max3_f32 v23, |v113|, |v115|, v23                        // 00000000964C: D1D30317 045EE771
	v_max3_f32 v22, |v116|, |v118|, v22                        // 000000009654: D1D30316 045AED74
	v_max3_f32 v23, |v117|, |v119|, v23                        // 00000000965C: D1D30317 045EEF75
	v_max3_f32 v22, |v120|, |v122|, v22                        // 000000009664: D1D30316 045AF578
	v_max3_f32 v23, |v121|, |v123|, v23                        // 00000000966C: D1D30317 045EF779
	v_max3_f32 v22, |v124|, |v126|, v22                        // 000000009674: D1D30316 045AFD7C
	v_max3_f32 v23, |v125|, |v127|, v23                        // 00000000967C: D1D30317 045EFF7D
	v_rcp_f32_e32 v22, v22                                     // 000000009684: 7E2C4516
	v_rcp_f32_e32 v23, v23                                     // 000000009688: 7E2E4517
	v_mul_f32_e32 v22, 0x42fe0000, v22                         // 00000000968C: 0A2C2CFF 42FE0000
	v_mul_f32_e32 v23, 0x42fe0000, v23                         // 000000009694: 0A2E2EFF 42FE0000
	v_mul_f32_e32 v128, v22, v128                              // 00000000969C: 0B010116
	v_mul_f32_e32 v129, v22, v129                              // 0000000096A0: 0B030316
	v_mul_f32_e32 v130, v22, v130                              // 0000000096A4: 0B050516
	v_mul_f32_e32 v131, v22, v131                              // 0000000096A8: 0B070716
	v_cvt_i32_f32_e32 v128, v128                               // 0000000096AC: 7F001180
	v_cvt_i32_f32_e32 v129, v129                               // 0000000096B0: 7F021181
	v_cvt_i32_f32_e32 v130, v130                               // 0000000096B4: 7F041182
	v_cvt_i32_f32_e32 v131, v131                               // 0000000096B8: 7F061183
	v_perm_b32 v128, v129, v128, s53                           // 0000000096BC: D1ED0080 00D70181
	v_perm_b32 v128, v130, v128, s54                           // 0000000096C4: D1ED0080 00DB0182
	v_perm_b32 v128, v131, v128, s55                           // 0000000096CC: D1ED0080 00DF0183
	v_mul_f32_e32 v132, v23, v132                              // 0000000096D4: 0B090917
	v_mul_f32_e32 v133, v23, v133                              // 0000000096D8: 0B0B0B17
	v_mul_f32_e32 v134, v23, v134                              // 0000000096DC: 0B0D0D17
	v_mul_f32_e32 v135, v23, v135                              // 0000000096E0: 0B0F0F17
	v_cvt_i32_f32_e32 v132, v132                               // 0000000096E4: 7F081184
	v_cvt_i32_f32_e32 v133, v133                               // 0000000096E8: 7F0A1185
	v_cvt_i32_f32_e32 v134, v134                               // 0000000096EC: 7F0C1186
	v_cvt_i32_f32_e32 v135, v135                               // 0000000096F0: 7F0E1187
	v_perm_b32 v129, v133, v132, s53                           // 0000000096F4: D1ED0081 00D70985
	v_perm_b32 v129, v134, v129, s54                           // 0000000096FC: D1ED0081 00DB0386
	v_perm_b32 v129, v135, v129, s55                           // 000000009704: D1ED0081 00DF0387
	v_mul_f32_e32 v136, v22, v136                              // 00000000970C: 0B111116
	v_mul_f32_e32 v137, v22, v137                              // 000000009710: 0B131316
	v_mul_f32_e32 v138, v22, v138                              // 000000009714: 0B151516
	v_mul_f32_e32 v139, v22, v139                              // 000000009718: 0B171716
	v_cvt_i32_f32_e32 v136, v136                               // 00000000971C: 7F101188
	v_cvt_i32_f32_e32 v137, v137                               // 000000009720: 7F121189
	v_cvt_i32_f32_e32 v138, v138                               // 000000009724: 7F14118A
	v_cvt_i32_f32_e32 v139, v139                               // 000000009728: 7F16118B
	v_perm_b32 v130, v137, v136, s53                           // 00000000972C: D1ED0082 00D71189
	v_perm_b32 v130, v138, v130, s54                           // 000000009734: D1ED0082 00DB058A
	v_perm_b32 v130, v139, v130, s55                           // 00000000973C: D1ED0082 00DF058B
	v_mul_f32_e32 v140, v23, v140                              // 000000009744: 0B191917
	v_mul_f32_e32 v141, v23, v141                              // 000000009748: 0B1B1B17
	v_mul_f32_e32 v142, v23, v142                              // 00000000974C: 0B1D1D17
	v_mul_f32_e32 v143, v23, v143                              // 000000009750: 0B1F1F17
	v_cvt_i32_f32_e32 v140, v140                               // 000000009754: 7F18118C
	v_cvt_i32_f32_e32 v141, v141                               // 000000009758: 7F1A118D
	v_cvt_i32_f32_e32 v142, v142                               // 00000000975C: 7F1C118E
	v_cvt_i32_f32_e32 v143, v143                               // 000000009760: 7F1E118F
	v_perm_b32 v131, v141, v140, s53                           // 000000009764: D1ED0083 00D7198D
	v_perm_b32 v131, v142, v131, s54                           // 00000000976C: D1ED0083 00DB078E
	v_perm_b32 v131, v143, v131, s55                           // 000000009774: D1ED0083 00DF078F
	v_mul_f32_e32 v144, v22, v144                              // 00000000977C: 0B212116
	v_mul_f32_e32 v145, v22, v145                              // 000000009780: 0B232316
	v_mul_f32_e32 v146, v22, v146                              // 000000009784: 0B252516
	v_mul_f32_e32 v147, v22, v147                              // 000000009788: 0B272716
	v_cvt_i32_f32_e32 v144, v144                               // 00000000978C: 7F201190
	v_cvt_i32_f32_e32 v145, v145                               // 000000009790: 7F221191
	v_cvt_i32_f32_e32 v146, v146                               // 000000009794: 7F241192
	v_cvt_i32_f32_e32 v147, v147                               // 000000009798: 7F261193
	v_perm_b32 v132, v145, v144, s53                           // 00000000979C: D1ED0084 00D72191
	v_perm_b32 v132, v146, v132, s54                           // 0000000097A4: D1ED0084 00DB0992
	v_perm_b32 v132, v147, v132, s55                           // 0000000097AC: D1ED0084 00DF0993
	v_mul_f32_e32 v148, v23, v148                              // 0000000097B4: 0B292917
	v_mul_f32_e32 v149, v23, v149                              // 0000000097B8: 0B2B2B17
	v_mul_f32_e32 v150, v23, v150                              // 0000000097BC: 0B2D2D17
	v_mul_f32_e32 v151, v23, v151                              // 0000000097C0: 0B2F2F17
	v_cvt_i32_f32_e32 v148, v148                               // 0000000097C4: 7F281194
	v_cvt_i32_f32_e32 v149, v149                               // 0000000097C8: 7F2A1195
	v_cvt_i32_f32_e32 v150, v150                               // 0000000097CC: 7F2C1196
	v_cvt_i32_f32_e32 v151, v151                               // 0000000097D0: 7F2E1197
	v_perm_b32 v133, v149, v148, s53                           // 0000000097D4: D1ED0085 00D72995
	v_perm_b32 v133, v150, v133, s54                           // 0000000097DC: D1ED0085 00DB0B96
	v_perm_b32 v133, v151, v133, s55                           // 0000000097E4: D1ED0085 00DF0B97
	v_mul_f32_e32 v152, v22, v152                              // 0000000097EC: 0B313116
	v_mul_f32_e32 v153, v22, v153                              // 0000000097F0: 0B333316
	v_mul_f32_e32 v154, v22, v154                              // 0000000097F4: 0B353516
	v_mul_f32_e32 v155, v22, v155                              // 0000000097F8: 0B373716
	v_cvt_i32_f32_e32 v152, v152                               // 0000000097FC: 7F301198
	v_cvt_i32_f32_e32 v153, v153                               // 000000009800: 7F321199
	v_cvt_i32_f32_e32 v154, v154                               // 000000009804: 7F34119A
	v_cvt_i32_f32_e32 v155, v155                               // 000000009808: 7F36119B
	v_perm_b32 v134, v153, v152, s53                           // 00000000980C: D1ED0086 00D73199
	v_perm_b32 v134, v154, v134, s54                           // 000000009814: D1ED0086 00DB0D9A
	v_perm_b32 v134, v155, v134, s55                           // 00000000981C: D1ED0086 00DF0D9B
	v_mul_f32_e32 v156, v23, v156                              // 000000009824: 0B393917
	v_mul_f32_e32 v157, v23, v157                              // 000000009828: 0B3B3B17
	v_mul_f32_e32 v158, v23, v158                              // 00000000982C: 0B3D3D17
	v_mul_f32_e32 v159, v23, v159                              // 000000009830: 0B3F3F17
	v_cvt_i32_f32_e32 v156, v156                               // 000000009834: 7F38119C
	v_cvt_i32_f32_e32 v157, v157                               // 000000009838: 7F3A119D
	v_cvt_i32_f32_e32 v158, v158                               // 00000000983C: 7F3C119E
	v_cvt_i32_f32_e32 v159, v159                               // 000000009840: 7F3E119F
	v_perm_b32 v135, v157, v156, s53                           // 000000009844: D1ED0087 00D7399D
	v_perm_b32 v135, v158, v135, s54                           // 00000000984C: D1ED0087 00DB0F9E
	v_perm_b32 v135, v159, v135, s55                           // 000000009854: D1ED0087 00DF0F9F
	v_mul_f32_e32 v160, v22, v160                              // 00000000985C: 0B414116
	v_mul_f32_e32 v161, v22, v161                              // 000000009860: 0B434316
	v_mul_f32_e32 v162, v22, v162                              // 000000009864: 0B454516
	v_mul_f32_e32 v163, v22, v163                              // 000000009868: 0B474716
	v_cvt_i32_f32_e32 v160, v160                               // 00000000986C: 7F4011A0
	v_cvt_i32_f32_e32 v161, v161                               // 000000009870: 7F4211A1
	v_cvt_i32_f32_e32 v162, v162                               // 000000009874: 7F4411A2
	v_cvt_i32_f32_e32 v163, v163                               // 000000009878: 7F4611A3
	v_perm_b32 v136, v161, v160, s53                           // 00000000987C: D1ED0088 00D741A1
	v_perm_b32 v136, v162, v136, s54                           // 000000009884: D1ED0088 00DB11A2
	v_perm_b32 v136, v163, v136, s55                           // 00000000988C: D1ED0088 00DF11A3
	v_mul_f32_e32 v164, v23, v164                              // 000000009894: 0B494917
	v_mul_f32_e32 v165, v23, v165                              // 000000009898: 0B4B4B17
	v_mul_f32_e32 v166, v23, v166                              // 00000000989C: 0B4D4D17
	v_mul_f32_e32 v167, v23, v167                              // 0000000098A0: 0B4F4F17
	v_cvt_i32_f32_e32 v164, v164                               // 0000000098A4: 7F4811A4
	v_cvt_i32_f32_e32 v165, v165                               // 0000000098A8: 7F4A11A5
	v_cvt_i32_f32_e32 v166, v166                               // 0000000098AC: 7F4C11A6
	v_cvt_i32_f32_e32 v167, v167                               // 0000000098B0: 7F4E11A7
	v_perm_b32 v137, v165, v164, s53                           // 0000000098B4: D1ED0089 00D749A5
	v_perm_b32 v137, v166, v137, s54                           // 0000000098BC: D1ED0089 00DB13A6
	v_perm_b32 v137, v167, v137, s55                           // 0000000098C4: D1ED0089 00DF13A7
	v_mul_f32_e32 v168, v22, v168                              // 0000000098CC: 0B515116
	v_mul_f32_e32 v169, v22, v169                              // 0000000098D0: 0B535316
	v_mul_f32_e32 v170, v22, v170                              // 0000000098D4: 0B555516
	v_mul_f32_e32 v171, v22, v171                              // 0000000098D8: 0B575716
	v_cvt_i32_f32_e32 v168, v168                               // 0000000098DC: 7F5011A8
	v_cvt_i32_f32_e32 v169, v169                               // 0000000098E0: 7F5211A9
	v_cvt_i32_f32_e32 v170, v170                               // 0000000098E4: 7F5411AA
	v_cvt_i32_f32_e32 v171, v171                               // 0000000098E8: 7F5611AB
	v_perm_b32 v138, v169, v168, s53                           // 0000000098EC: D1ED008A 00D751A9
	v_perm_b32 v138, v170, v138, s54                           // 0000000098F4: D1ED008A 00DB15AA
	v_perm_b32 v138, v171, v138, s55                           // 0000000098FC: D1ED008A 00DF15AB
	v_mul_f32_e32 v172, v23, v172                              // 000000009904: 0B595917
	v_mul_f32_e32 v173, v23, v173                              // 000000009908: 0B5B5B17
	v_mul_f32_e32 v174, v23, v174                              // 00000000990C: 0B5D5D17
	v_mul_f32_e32 v175, v23, v175                              // 000000009910: 0B5F5F17
	v_cvt_i32_f32_e32 v172, v172                               // 000000009914: 7F5811AC
	v_cvt_i32_f32_e32 v173, v173                               // 000000009918: 7F5A11AD
	v_cvt_i32_f32_e32 v174, v174                               // 00000000991C: 7F5C11AE
	v_cvt_i32_f32_e32 v175, v175                               // 000000009920: 7F5E11AF
	v_perm_b32 v139, v173, v172, s53                           // 000000009924: D1ED008B 00D759AD
	v_perm_b32 v139, v174, v139, s54                           // 00000000992C: D1ED008B 00DB17AE
	v_perm_b32 v139, v175, v139, s55                           // 000000009934: D1ED008B 00DF17AF
	v_mul_f32_e32 v176, v22, v176                              // 00000000993C: 0B616116
	v_mul_f32_e32 v177, v22, v177                              // 000000009940: 0B636316
	v_mul_f32_e32 v178, v22, v178                              // 000000009944: 0B656516
	v_mul_f32_e32 v179, v22, v179                              // 000000009948: 0B676716
	v_cvt_i32_f32_e32 v176, v176                               // 00000000994C: 7F6011B0
	v_cvt_i32_f32_e32 v177, v177                               // 000000009950: 7F6211B1
	v_cvt_i32_f32_e32 v178, v178                               // 000000009954: 7F6411B2
	v_cvt_i32_f32_e32 v179, v179                               // 000000009958: 7F6611B3
	v_perm_b32 v140, v177, v176, s53                           // 00000000995C: D1ED008C 00D761B1
	v_perm_b32 v140, v178, v140, s54                           // 000000009964: D1ED008C 00DB19B2
	v_perm_b32 v140, v179, v140, s55                           // 00000000996C: D1ED008C 00DF19B3
	v_mul_f32_e32 v180, v23, v180                              // 000000009974: 0B696917
	v_mul_f32_e32 v181, v23, v181                              // 000000009978: 0B6B6B17
	v_mul_f32_e32 v182, v23, v182                              // 00000000997C: 0B6D6D17
	v_mul_f32_e32 v183, v23, v183                              // 000000009980: 0B6F6F17
	v_cvt_i32_f32_e32 v180, v180                               // 000000009984: 7F6811B4
	v_cvt_i32_f32_e32 v181, v181                               // 000000009988: 7F6A11B5
	v_cvt_i32_f32_e32 v182, v182                               // 00000000998C: 7F6C11B6
	v_cvt_i32_f32_e32 v183, v183                               // 000000009990: 7F6E11B7
	v_perm_b32 v141, v181, v180, s53                           // 000000009994: D1ED008D 00D769B5
	v_perm_b32 v141, v182, v141, s54                           // 00000000999C: D1ED008D 00DB1BB6
	v_perm_b32 v141, v183, v141, s55                           // 0000000099A4: D1ED008D 00DF1BB7
	v_mul_f32_e32 v184, v22, v184                              // 0000000099AC: 0B717116
	v_mul_f32_e32 v185, v22, v185                              // 0000000099B0: 0B737316
	v_mul_f32_e32 v186, v22, v186                              // 0000000099B4: 0B757516
	v_mul_f32_e32 v187, v22, v187                              // 0000000099B8: 0B777716
	v_cvt_i32_f32_e32 v184, v184                               // 0000000099BC: 7F7011B8
	v_cvt_i32_f32_e32 v185, v185                               // 0000000099C0: 7F7211B9
	v_cvt_i32_f32_e32 v186, v186                               // 0000000099C4: 7F7411BA
	v_cvt_i32_f32_e32 v187, v187                               // 0000000099C8: 7F7611BB
	v_perm_b32 v142, v185, v184, s53                           // 0000000099CC: D1ED008E 00D771B9
	v_perm_b32 v142, v186, v142, s54                           // 0000000099D4: D1ED008E 00DB1DBA
	v_perm_b32 v142, v187, v142, s55                           // 0000000099DC: D1ED008E 00DF1DBB
	v_mul_f32_e32 v188, v23, v188                              // 0000000099E4: 0B797917
	v_mul_f32_e32 v189, v23, v189                              // 0000000099E8: 0B7B7B17
	v_mul_f32_e32 v190, v23, v190                              // 0000000099EC: 0B7D7D17
	v_mul_f32_e32 v191, v23, v191                              // 0000000099F0: 0B7F7F17
	v_cvt_i32_f32_e32 v188, v188                               // 0000000099F4: 7F7811BC
	v_cvt_i32_f32_e32 v189, v189                               // 0000000099F8: 7F7A11BD
	v_cvt_i32_f32_e32 v190, v190                               // 0000000099FC: 7F7C11BE
	v_cvt_i32_f32_e32 v191, v191                               // 000000009A00: 7F7E11BF
	v_perm_b32 v143, v189, v188, s53                           // 000000009A04: D1ED008F 00D779BD
	v_perm_b32 v143, v190, v143, s54                           // 000000009A0C: D1ED008F 00DB1FBE
	v_perm_b32 v143, v191, v143, s55                           // 000000009A14: D1ED008F 00DF1FBF
	v_rcp_f32_e32 v24, v22                                     // 000000009A1C: 7E304516
	v_rcp_f32_e32 v25, v23                                     // 000000009A20: 7E324517
	v_lshrrev_b32_e32 v50, 5, v0                               // 000000009A24: 20640085
	v_lshlrev_b32_e32 v51, 5, v50                              // 000000009A28: 24666485
	v_and_b32_e32 v50, 31, v0                                  // 000000009A2C: 2664009F
	v_lshrrev_b32_e32 v52, 4, v50                              // 000000009A30: 20686484
	v_add_u32_e32 v51, v52, v51                                // 000000009A34: 68666734
	v_and_b32_e32 v50, 15, v0                                  // 000000009A38: 2664008F
	v_lshlrev_b32_e32 v50, 1, v50                              // 000000009A3C: 24646481
	v_add_u32_e32 v51, v50, v51                                // 000000009A40: 68666732
	v_lshlrev_b32_e32 v50, 2, v51                              // 000000009A44: 24646682
	s_mul_i32 s60, 0x100, s7                                   // 000000009A48: 923C07FF 00000100
	v_add_u32_e64 v50, v50, s60                                // 000000009A50: D1340032 00007932
	ds_write_b32 v50, v128 offset:18688                        // 000000009A58: D81A4900 00008032
	ds_write_b32 v50, v129 offset:26880                        // 000000009A60: D81A6900 00008132
	ds_write_b32 v50, v130 offset:19712                        // 000000009A68: D81A4D00 00008232
	ds_write_b32 v50, v131 offset:27904                        // 000000009A70: D81A6D00 00008332
	ds_write_b32 v50, v132 offset:20736                        // 000000009A78: D81A5100 00008432
	ds_write_b32 v50, v133 offset:28928                        // 000000009A80: D81A7100 00008532
	ds_write_b32 v50, v134 offset:21760                        // 000000009A88: D81A5500 00008632
	ds_write_b32 v50, v135 offset:29952                        // 000000009A90: D81A7500 00008732
	ds_write_b32 v50, v136 offset:22784                        // 000000009A98: D81A5900 00008832
	ds_write_b32 v50, v137 offset:30976                        // 000000009AA0: D81A7900 00008932
	ds_write_b32 v50, v138 offset:23808                        // 000000009AA8: D81A5D00 00008A32
	ds_write_b32 v50, v139 offset:32000                        // 000000009AB0: D81A7D00 00008B32
	ds_write_b32 v50, v140 offset:24832                        // 000000009AB8: D81A6100 00008C32
	ds_write_b32 v50, v141 offset:33024                        // 000000009AC0: D81A8100 00008D32
	ds_write_b32 v50, v142 offset:25856                        // 000000009AC8: D81A6500 00008E32
	ds_write_b32 v50, v143 offset:34048                        // 000000009AD0: D81A8500 00008F32
	s_waitcnt lgkmcnt(0)                                       // 000000009AD8: BF8CC07F
	s_barrier                                                  // 000000009ADC: BF8A0000
	v_lshrrev_b32_e32 v50, 4, v0                               // 000000009AE0: 20640084
	v_lshlrev_b32_e32 v51, 6, v50                              // 000000009AE4: 24666486
	v_and_b32_e32 v50, 15, v0                                  // 000000009AE8: 2664008F
	v_lshlrev_b32_e32 v50, 1, v50                              // 000000009AEC: 24646481
	v_add_u32_e32 v51, v50, v51                                // 000000009AF0: 68666732
	v_lshlrev_b32_e32 v50, 2, v51                              // 000000009AF4: 24646682
	ds_read_b64 v[128:129], v50 offset:18688                   // 000000009AF8: D8EC4900 80000032
	ds_read_b64 v[130:131], v50 offset:18816                   // 000000009B00: D8EC4980 82000032
	ds_read_b64 v[132:133], v50 offset:19712                   // 000000009B08: D8EC4D00 84000032
	ds_read_b64 v[134:135], v50 offset:19840                   // 000000009B10: D8EC4D80 86000032
	ds_read_b64 v[136:137], v50 offset:20736                   // 000000009B18: D8EC5100 88000032
	ds_read_b64 v[138:139], v50 offset:20864                   // 000000009B20: D8EC5180 8A000032
	ds_read_b64 v[140:141], v50 offset:21760                   // 000000009B28: D8EC5500 8C000032
	ds_read_b64 v[142:143], v50 offset:21888                   // 000000009B30: D8EC5580 8E000032
	ds_read_b64 v[144:145], v50 offset:22784                   // 000000009B38: D8EC5900 90000032
	ds_read_b64 v[146:147], v50 offset:22912                   // 000000009B40: D8EC5980 92000032
	ds_read_b64 v[148:149], v50 offset:23808                   // 000000009B48: D8EC5D00 94000032
	ds_read_b64 v[150:151], v50 offset:23936                   // 000000009B50: D8EC5D80 96000032
	ds_read_b64 v[152:153], v50 offset:24832                   // 000000009B58: D8EC6100 98000032
	ds_read_b64 v[154:155], v50 offset:24960                   // 000000009B60: D8EC6180 9A000032
	ds_read_b64 v[156:157], v50 offset:25856                   // 000000009B68: D8EC6500 9C000032
	ds_read_b64 v[158:159], v50 offset:25984                   // 000000009B70: D8EC6580 9E000032
	ds_read_b64 v[160:161], v50 offset:26880                   // 000000009B78: D8EC6900 A0000032
	ds_read_b64 v[162:163], v50 offset:27008                   // 000000009B80: D8EC6980 A2000032
	ds_read_b64 v[164:165], v50 offset:27904                   // 000000009B88: D8EC6D00 A4000032
	ds_read_b64 v[166:167], v50 offset:28032                   // 000000009B90: D8EC6D80 A6000032
	ds_read_b64 v[168:169], v50 offset:28928                   // 000000009B98: D8EC7100 A8000032
	ds_read_b64 v[170:171], v50 offset:29056                   // 000000009BA0: D8EC7180 AA000032
	ds_read_b64 v[172:173], v50 offset:29952                   // 000000009BA8: D8EC7500 AC000032
	ds_read_b64 v[174:175], v50 offset:30080                   // 000000009BB0: D8EC7580 AE000032
	ds_read_b64 v[176:177], v50 offset:30976                   // 000000009BB8: D8EC7900 B0000032
	ds_read_b64 v[178:179], v50 offset:31104                   // 000000009BC0: D8EC7980 B2000032
	ds_read_b64 v[180:181], v50 offset:32000                   // 000000009BC8: D8EC7D00 B4000032
	ds_read_b64 v[182:183], v50 offset:32128                   // 000000009BD0: D8EC7D80 B6000032
	ds_read_b64 v[184:185], v50 offset:33024                   // 000000009BD8: D8EC8100 B8000032
	ds_read_b64 v[186:187], v50 offset:33152                   // 000000009BE0: D8EC8180 BA000032
	ds_read_b64 v[188:189], v50 offset:34048                   // 000000009BE8: D8EC8500 BC000032
	ds_read_b64 v[190:191], v50 offset:34176                   // 000000009BF0: D8EC8580 BE000032
	s_add_u32 s12, s56, s12                                    // 000000009BF8: 800C0C38
	s_addc_u32 s13, 0, s13                                     // 000000009BFC: 820D0D80
	s_add_u32 s16, s79, s16                                    // 000000009C00: 8010104F
	s_addc_u32 s17, 0, s17                                     // 000000009C04: 82111180
	s_mov_b32 s80, 0                                           // 000000009C08: BED00080
	s_waitcnt vmcnt(0) expcnt(0) lgkmcnt(0)                    // 000000009C0C: BF8C0000

0000000000009c10 <label_1B84>:
	s_waitcnt vmcnt(45)                                        // 000000009C10: BF8C8F7D
	s_barrier                                                  // 000000009C14: BF8A0000
	v_mfma_i32_16x16x32_i8 v[192:195], a[0:1], v[128:129], 0   // 000000009C18: D3D700C0 0A030100
	buffer_load_dwordx4 a[128:131], v42, s[12:15], 0 offen     // 000000009C20: E05C1000 8083802A
	v_mfma_i32_16x16x32_i8 v[192:195], a[2:3], v[130:131], v[192:195]// 000000009C28: D3D700C0 0F030502
	v_mfma_i32_16x16x32_i8 v[196:199], a[0:1], v[160:161], 0   // 000000009C30: D3D700C4 0A034100
	v_mfma_i32_16x16x32_i8 v[196:199], a[2:3], v[162:163], v[196:199]// 000000009C38: D3D700C4 0F134502
	v_mfma_i32_16x16x32_i8 v[200:203], a[4:5], v[128:129], 0   // 000000009C40: D3D700C8 0A030104
	buffer_load_dwordx4 a[132:135], v43, s[12:15], 0 offen     // 000000009C48: E05C1000 8083842B
	v_mfma_i32_16x16x32_i8 v[200:203], a[6:7], v[130:131], v[200:203]// 000000009C50: D3D700C8 0F230506
	v_mfma_i32_16x16x32_i8 v[204:207], a[4:5], v[160:161], 0   // 000000009C58: D3D700CC 0A034104
	v_mfma_i32_16x16x32_i8 v[204:207], a[6:7], v[162:163], v[204:207]// 000000009C60: D3D700CC 0F334506
	v_mfma_i32_16x16x32_i8 v[208:211], a[8:9], v[128:129], 0   // 000000009C68: D3D700D0 0A030108
	buffer_load_dwordx4 a[136:139], v44, s[12:15], 0 offen     // 000000009C70: E05C1000 8083882C
	v_mfma_i32_16x16x32_i8 v[208:211], a[10:11], v[130:131], v[208:211]// 000000009C78: D3D700D0 0F43050A
	v_mfma_i32_16x16x32_i8 v[212:215], a[8:9], v[160:161], 0   // 000000009C80: D3D700D4 0A034108
	v_mfma_i32_16x16x32_i8 v[212:215], a[10:11], v[162:163], v[212:215]// 000000009C88: D3D700D4 0F53450A
	v_mfma_i32_16x16x32_i8 v[216:219], a[12:13], v[128:129], 0 // 000000009C90: D3D700D8 0A03010C
	buffer_load_dwordx4 a[140:143], v45, s[12:15], 0 offen     // 000000009C98: E05C1000 80838C2D
	s_add_u32 s12, s78, s12                                    // 000000009CA0: 800C0C4E
	s_addc_u32 s13, 0, s13                                     // 000000009CA4: 820D0D80
	v_mfma_i32_16x16x32_i8 v[216:219], a[14:15], v[130:131], v[216:219]// 000000009CA8: D3D700D8 0F63050E
	v_mfma_i32_16x16x32_i8 v[220:223], a[12:13], v[160:161], 0 // 000000009CB0: D3D700DC 0A03410C
	v_mfma_i32_16x16x32_i8 v[220:223], a[14:15], v[162:163], v[220:223]// 000000009CB8: D3D700DC 0F73450E
	s_waitcnt vmcnt(45)                                        // 000000009CC0: BF8C8F7D
	v_mfma_i32_16x16x32_i8 v[192:195], a[16:17], v[132:133], v[192:195]// 000000009CC4: D3D700C0 0F030910
	buffer_load_dwordx4 a[144:147], v42, s[12:15], 0 offen     // 000000009CCC: E05C1000 8083902A
	v_mfma_i32_16x16x32_i8 v[192:195], a[18:19], v[134:135], v[192:195]// 000000009CD4: D3D700C0 0F030D12
	v_mfma_i32_16x16x32_i8 v[196:199], a[16:17], v[164:165], v[196:199]// 000000009CDC: D3D700C4 0F134910
	v_mfma_i32_16x16x32_i8 v[196:199], a[18:19], v[166:167], v[196:199]// 000000009CE4: D3D700C4 0F134D12
	v_mfma_i32_16x16x32_i8 v[200:203], a[20:21], v[132:133], v[200:203]// 000000009CEC: D3D700C8 0F230914
	buffer_load_dwordx4 a[148:151], v43, s[12:15], 0 offen     // 000000009CF4: E05C1000 8083942B
	v_mfma_i32_16x16x32_i8 v[200:203], a[22:23], v[134:135], v[200:203]// 000000009CFC: D3D700C8 0F230D16
	v_mfma_i32_16x16x32_i8 v[204:207], a[20:21], v[164:165], v[204:207]// 000000009D04: D3D700CC 0F334914
	v_mfma_i32_16x16x32_i8 v[204:207], a[22:23], v[166:167], v[204:207]// 000000009D0C: D3D700CC 0F334D16
	v_mfma_i32_16x16x32_i8 v[208:211], a[24:25], v[132:133], v[208:211]// 000000009D14: D3D700D0 0F430918
	buffer_load_dwordx4 a[152:155], v44, s[12:15], 0 offen     // 000000009D1C: E05C1000 8083982C
	v_mfma_i32_16x16x32_i8 v[208:211], a[26:27], v[134:135], v[208:211]// 000000009D24: D3D700D0 0F430D1A
	v_mfma_i32_16x16x32_i8 v[212:215], a[24:25], v[164:165], v[212:215]// 000000009D2C: D3D700D4 0F534918
	v_mfma_i32_16x16x32_i8 v[212:215], a[26:27], v[166:167], v[212:215]// 000000009D34: D3D700D4 0F534D1A
	v_mfma_i32_16x16x32_i8 v[216:219], a[28:29], v[132:133], v[216:219]// 000000009D3C: D3D700D8 0F63091C
	buffer_load_dwordx4 a[156:159], v45, s[12:15], 0 offen     // 000000009D44: E05C1000 80839C2D
	s_add_u32 s12, s78, s12                                    // 000000009D4C: 800C0C4E
	s_addc_u32 s13, 0, s13                                     // 000000009D50: 820D0D80
	v_mfma_i32_16x16x32_i8 v[216:219], a[30:31], v[134:135], v[216:219]// 000000009D54: D3D700D8 0F630D1E
	v_mfma_i32_16x16x32_i8 v[220:223], a[28:29], v[164:165], v[220:223]// 000000009D5C: D3D700DC 0F73491C
	v_mfma_i32_16x16x32_i8 v[220:223], a[30:31], v[166:167], v[220:223]// 000000009D64: D3D700DC 0F734D1E
	s_waitcnt vmcnt(45)                                        // 000000009D6C: BF8C8F7D
	v_mfma_i32_16x16x32_i8 v[192:195], a[32:33], v[136:137], v[192:195]// 000000009D70: D3D700C0 0F031120
	buffer_load_dwordx4 a[160:163], v42, s[12:15], 0 offen     // 000000009D78: E05C1000 8083A02A
	v_mfma_i32_16x16x32_i8 v[192:195], a[34:35], v[138:139], v[192:195]// 000000009D80: D3D700C0 0F031522
	v_mfma_i32_16x16x32_i8 v[196:199], a[32:33], v[168:169], v[196:199]// 000000009D88: D3D700C4 0F135120
	v_mfma_i32_16x16x32_i8 v[196:199], a[34:35], v[170:171], v[196:199]// 000000009D90: D3D700C4 0F135522
	v_mfma_i32_16x16x32_i8 v[200:203], a[36:37], v[136:137], v[200:203]// 000000009D98: D3D700C8 0F231124
	buffer_load_dwordx4 a[164:167], v43, s[12:15], 0 offen     // 000000009DA0: E05C1000 8083A42B
	v_mfma_i32_16x16x32_i8 v[200:203], a[38:39], v[138:139], v[200:203]// 000000009DA8: D3D700C8 0F231526
	v_mfma_i32_16x16x32_i8 v[204:207], a[36:37], v[168:169], v[204:207]// 000000009DB0: D3D700CC 0F335124
	v_mfma_i32_16x16x32_i8 v[204:207], a[38:39], v[170:171], v[204:207]// 000000009DB8: D3D700CC 0F335526
	v_mfma_i32_16x16x32_i8 v[208:211], a[40:41], v[136:137], v[208:211]// 000000009DC0: D3D700D0 0F431128
	buffer_load_dwordx4 a[168:171], v44, s[12:15], 0 offen     // 000000009DC8: E05C1000 8083A82C
	v_mfma_i32_16x16x32_i8 v[208:211], a[42:43], v[138:139], v[208:211]// 000000009DD0: D3D700D0 0F43152A
	v_mfma_i32_16x16x32_i8 v[212:215], a[40:41], v[168:169], v[212:215]// 000000009DD8: D3D700D4 0F535128
	v_mfma_i32_16x16x32_i8 v[212:215], a[42:43], v[170:171], v[212:215]// 000000009DE0: D3D700D4 0F53552A
	v_mfma_i32_16x16x32_i8 v[216:219], a[44:45], v[136:137], v[216:219]// 000000009DE8: D3D700D8 0F63112C
	buffer_load_dwordx4 a[172:175], v45, s[12:15], 0 offen     // 000000009DF0: E05C1000 8083AC2D
	s_add_u32 s12, s78, s12                                    // 000000009DF8: 800C0C4E
	s_addc_u32 s13, 0, s13                                     // 000000009DFC: 820D0D80
	v_mfma_i32_16x16x32_i8 v[216:219], a[46:47], v[138:139], v[216:219]// 000000009E00: D3D700D8 0F63152E
	v_mfma_i32_16x16x32_i8 v[220:223], a[44:45], v[168:169], v[220:223]// 000000009E08: D3D700DC 0F73512C
	v_mfma_i32_16x16x32_i8 v[220:223], a[46:47], v[170:171], v[220:223]// 000000009E10: D3D700DC 0F73552E
	s_waitcnt vmcnt(45)                                        // 000000009E18: BF8C8F7D
	v_mfma_i32_16x16x32_i8 v[192:195], a[48:49], v[140:141], v[192:195]// 000000009E1C: D3D700C0 0F031930
	buffer_load_dwordx4 a[176:179], v42, s[12:15], 0 offen     // 000000009E24: E05C1000 8083B02A
	v_mfma_i32_16x16x32_i8 v[192:195], a[50:51], v[142:143], v[192:195]// 000000009E2C: D3D700C0 0F031D32
	v_mfma_i32_16x16x32_i8 v[196:199], a[48:49], v[172:173], v[196:199]// 000000009E34: D3D700C4 0F135930
	v_mfma_i32_16x16x32_i8 v[196:199], a[50:51], v[174:175], v[196:199]// 000000009E3C: D3D700C4 0F135D32
	v_mfma_i32_16x16x32_i8 v[200:203], a[52:53], v[140:141], v[200:203]// 000000009E44: D3D700C8 0F231934
	buffer_load_dwordx4 a[180:183], v43, s[12:15], 0 offen     // 000000009E4C: E05C1000 8083B42B
	v_mfma_i32_16x16x32_i8 v[200:203], a[54:55], v[142:143], v[200:203]// 000000009E54: D3D700C8 0F231D36
	v_mfma_i32_16x16x32_i8 v[204:207], a[52:53], v[172:173], v[204:207]// 000000009E5C: D3D700CC 0F335934
	v_mfma_i32_16x16x32_i8 v[204:207], a[54:55], v[174:175], v[204:207]// 000000009E64: D3D700CC 0F335D36
	v_mfma_i32_16x16x32_i8 v[208:211], a[56:57], v[140:141], v[208:211]// 000000009E6C: D3D700D0 0F431938
	buffer_load_dwordx4 a[184:187], v44, s[12:15], 0 offen     // 000000009E74: E05C1000 8083B82C
	v_mfma_i32_16x16x32_i8 v[208:211], a[58:59], v[142:143], v[208:211]// 000000009E7C: D3D700D0 0F431D3A
	v_mfma_i32_16x16x32_i8 v[212:215], a[56:57], v[172:173], v[212:215]// 000000009E84: D3D700D4 0F535938
	v_mfma_i32_16x16x32_i8 v[212:215], a[58:59], v[174:175], v[212:215]// 000000009E8C: D3D700D4 0F535D3A
	v_mfma_i32_16x16x32_i8 v[216:219], a[60:61], v[140:141], v[216:219]// 000000009E94: D3D700D8 0F63193C
	buffer_load_dwordx4 a[188:191], v45, s[12:15], 0 offen     // 000000009E9C: E05C1000 8083BC2D
	s_add_u32 s12, s78, s12                                    // 000000009EA4: 800C0C4E
	s_addc_u32 s13, 0, s13                                     // 000000009EA8: 820D0D80
	v_mfma_i32_16x16x32_i8 v[216:219], a[62:63], v[142:143], v[216:219]// 000000009EAC: D3D700D8 0F631D3E
	v_mfma_i32_16x16x32_i8 v[220:223], a[60:61], v[172:173], v[220:223]// 000000009EB4: D3D700DC 0F73593C
	v_mfma_i32_16x16x32_i8 v[220:223], a[62:63], v[174:175], v[220:223]// 000000009EBC: D3D700DC 0F735D3E
	s_waitcnt vmcnt(45)                                        // 000000009EC4: BF8C8F7D
	v_mfma_i32_16x16x32_i8 v[192:195], a[64:65], v[144:145], v[192:195]// 000000009EC8: D3D700C0 0F032140
	buffer_load_dwordx4 a[192:195], v42, s[12:15], 0 offen     // 000000009ED0: E05C1000 8083C02A
	v_mfma_i32_16x16x32_i8 v[192:195], a[66:67], v[146:147], v[192:195]// 000000009ED8: D3D700C0 0F032542
	v_mfma_i32_16x16x32_i8 v[196:199], a[64:65], v[176:177], v[196:199]// 000000009EE0: D3D700C4 0F136140
	v_mfma_i32_16x16x32_i8 v[196:199], a[66:67], v[178:179], v[196:199]// 000000009EE8: D3D700C4 0F136542
	v_mfma_i32_16x16x32_i8 v[200:203], a[68:69], v[144:145], v[200:203]// 000000009EF0: D3D700C8 0F232144
	buffer_load_dwordx4 a[196:199], v43, s[12:15], 0 offen     // 000000009EF8: E05C1000 8083C42B
	v_mfma_i32_16x16x32_i8 v[200:203], a[70:71], v[146:147], v[200:203]// 000000009F00: D3D700C8 0F232546
	v_mfma_i32_16x16x32_i8 v[204:207], a[68:69], v[176:177], v[204:207]// 000000009F08: D3D700CC 0F336144
	v_mfma_i32_16x16x32_i8 v[204:207], a[70:71], v[178:179], v[204:207]// 000000009F10: D3D700CC 0F336546
	v_mfma_i32_16x16x32_i8 v[208:211], a[72:73], v[144:145], v[208:211]// 000000009F18: D3D700D0 0F432148
	buffer_load_dwordx4 a[200:203], v44, s[12:15], 0 offen     // 000000009F20: E05C1000 8083C82C
	v_mfma_i32_16x16x32_i8 v[208:211], a[74:75], v[146:147], v[208:211]// 000000009F28: D3D700D0 0F43254A
	v_mfma_i32_16x16x32_i8 v[212:215], a[72:73], v[176:177], v[212:215]// 000000009F30: D3D700D4 0F536148
	v_mfma_i32_16x16x32_i8 v[212:215], a[74:75], v[178:179], v[212:215]// 000000009F38: D3D700D4 0F53654A
	v_mfma_i32_16x16x32_i8 v[216:219], a[76:77], v[144:145], v[216:219]// 000000009F40: D3D700D8 0F63214C
	buffer_load_dwordx4 a[204:207], v45, s[12:15], 0 offen     // 000000009F48: E05C1000 8083CC2D
	s_add_u32 s12, s78, s12                                    // 000000009F50: 800C0C4E
	s_addc_u32 s13, 0, s13                                     // 000000009F54: 820D0D80
	v_mfma_i32_16x16x32_i8 v[216:219], a[78:79], v[146:147], v[216:219]// 000000009F58: D3D700D8 0F63254E
	v_mfma_i32_16x16x32_i8 v[220:223], a[76:77], v[176:177], v[220:223]// 000000009F60: D3D700DC 0F73614C
	v_mfma_i32_16x16x32_i8 v[220:223], a[78:79], v[178:179], v[220:223]// 000000009F68: D3D700DC 0F73654E
	s_waitcnt vmcnt(45)                                        // 000000009F70: BF8C8F7D
	v_mfma_i32_16x16x32_i8 v[192:195], a[80:81], v[148:149], v[192:195]// 000000009F74: D3D700C0 0F032950
	buffer_load_dwordx4 a[208:211], v42, s[12:15], 0 offen     // 000000009F7C: E05C1000 8083D02A
	v_mfma_i32_16x16x32_i8 v[192:195], a[82:83], v[150:151], v[192:195]// 000000009F84: D3D700C0 0F032D52
	v_mfma_i32_16x16x32_i8 v[196:199], a[80:81], v[180:181], v[196:199]// 000000009F8C: D3D700C4 0F136950
	v_mfma_i32_16x16x32_i8 v[196:199], a[82:83], v[182:183], v[196:199]// 000000009F94: D3D700C4 0F136D52
	v_mfma_i32_16x16x32_i8 v[200:203], a[84:85], v[148:149], v[200:203]// 000000009F9C: D3D700C8 0F232954
	buffer_load_dwordx4 a[212:215], v43, s[12:15], 0 offen     // 000000009FA4: E05C1000 8083D42B
	v_mfma_i32_16x16x32_i8 v[200:203], a[86:87], v[150:151], v[200:203]// 000000009FAC: D3D700C8 0F232D56
	v_mfma_i32_16x16x32_i8 v[204:207], a[84:85], v[180:181], v[204:207]// 000000009FB4: D3D700CC 0F336954
	v_mfma_i32_16x16x32_i8 v[204:207], a[86:87], v[182:183], v[204:207]// 000000009FBC: D3D700CC 0F336D56
	v_mfma_i32_16x16x32_i8 v[208:211], a[88:89], v[148:149], v[208:211]// 000000009FC4: D3D700D0 0F432958
	buffer_load_dwordx4 a[216:219], v44, s[12:15], 0 offen     // 000000009FCC: E05C1000 8083D82C
	v_mfma_i32_16x16x32_i8 v[208:211], a[90:91], v[150:151], v[208:211]// 000000009FD4: D3D700D0 0F432D5A
	v_mfma_i32_16x16x32_i8 v[212:215], a[88:89], v[180:181], v[212:215]// 000000009FDC: D3D700D4 0F536958
	v_mfma_i32_16x16x32_i8 v[212:215], a[90:91], v[182:183], v[212:215]// 000000009FE4: D3D700D4 0F536D5A
	v_mfma_i32_16x16x32_i8 v[216:219], a[92:93], v[148:149], v[216:219]// 000000009FEC: D3D700D8 0F63295C
	buffer_load_dwordx4 a[220:223], v45, s[12:15], 0 offen     // 000000009FF4: E05C1000 8083DC2D
	s_add_u32 s12, s78, s12                                    // 000000009FFC: 800C0C4E
	s_addc_u32 s13, 0, s13                                     // 00000000A000: 820D0D80
	v_mfma_i32_16x16x32_i8 v[216:219], a[94:95], v[150:151], v[216:219]// 00000000A004: D3D700D8 0F632D5E
	v_mfma_i32_16x16x32_i8 v[220:223], a[92:93], v[180:181], v[220:223]// 00000000A00C: D3D700DC 0F73695C
	v_mfma_i32_16x16x32_i8 v[220:223], a[94:95], v[182:183], v[220:223]// 00000000A014: D3D700DC 0F736D5E
	s_waitcnt vmcnt(45)                                        // 00000000A01C: BF8C8F7D
	v_mfma_i32_16x16x32_i8 v[192:195], a[96:97], v[152:153], v[192:195]// 00000000A020: D3D700C0 0F033160
	buffer_load_dwordx4 a[224:227], v42, s[12:15], 0 offen     // 00000000A028: E05C1000 8083E02A
	v_mfma_i32_16x16x32_i8 v[192:195], a[98:99], v[154:155], v[192:195]// 00000000A030: D3D700C0 0F033562
	v_mfma_i32_16x16x32_i8 v[196:199], a[96:97], v[184:185], v[196:199]// 00000000A038: D3D700C4 0F137160
	v_mfma_i32_16x16x32_i8 v[196:199], a[98:99], v[186:187], v[196:199]// 00000000A040: D3D700C4 0F137562
	v_mfma_i32_16x16x32_i8 v[200:203], a[100:101], v[152:153], v[200:203]// 00000000A048: D3D700C8 0F233164
	buffer_load_dwordx4 a[228:231], v43, s[12:15], 0 offen     // 00000000A050: E05C1000 8083E42B
	v_mfma_i32_16x16x32_i8 v[200:203], a[102:103], v[154:155], v[200:203]// 00000000A058: D3D700C8 0F233566
	v_mfma_i32_16x16x32_i8 v[204:207], a[100:101], v[184:185], v[204:207]// 00000000A060: D3D700CC 0F337164
	v_mfma_i32_16x16x32_i8 v[204:207], a[102:103], v[186:187], v[204:207]// 00000000A068: D3D700CC 0F337566
	v_mfma_i32_16x16x32_i8 v[208:211], a[104:105], v[152:153], v[208:211]// 00000000A070: D3D700D0 0F433168
	buffer_load_dwordx4 a[232:235], v44, s[12:15], 0 offen     // 00000000A078: E05C1000 8083E82C
	v_mfma_i32_16x16x32_i8 v[208:211], a[106:107], v[154:155], v[208:211]// 00000000A080: D3D700D0 0F43356A
	v_mfma_i32_16x16x32_i8 v[212:215], a[104:105], v[184:185], v[212:215]// 00000000A088: D3D700D4 0F537168
	v_mfma_i32_16x16x32_i8 v[212:215], a[106:107], v[186:187], v[212:215]// 00000000A090: D3D700D4 0F53756A
	v_mfma_i32_16x16x32_i8 v[216:219], a[108:109], v[152:153], v[216:219]// 00000000A098: D3D700D8 0F63316C
	buffer_load_dwordx4 a[236:239], v45, s[12:15], 0 offen     // 00000000A0A0: E05C1000 8083EC2D
	s_add_u32 s12, s78, s12                                    // 00000000A0A8: 800C0C4E
	s_addc_u32 s13, 0, s13                                     // 00000000A0AC: 820D0D80
	v_mfma_i32_16x16x32_i8 v[216:219], a[110:111], v[154:155], v[216:219]// 00000000A0B0: D3D700D8 0F63356E
	v_mfma_i32_16x16x32_i8 v[220:223], a[108:109], v[184:185], v[220:223]// 00000000A0B8: D3D700DC 0F73716C
	v_mfma_i32_16x16x32_i8 v[220:223], a[110:111], v[186:187], v[220:223]// 00000000A0C0: D3D700DC 0F73756E
	s_waitcnt vmcnt(44)                                        // 00000000A0C8: BF8C8F7C
	v_mfma_i32_16x16x32_i8 v[192:195], a[112:113], v[156:157], v[192:195]// 00000000A0CC: D3D700C0 0F033970
	buffer_load_dwordx4 a[240:243], v42, s[12:15], 0 offen     // 00000000A0D4: E05C1000 8083F02A
	v_mfma_i32_16x16x32_i8 v[192:195], a[114:115], v[158:159], v[192:195]// 00000000A0DC: D3D700C0 0F033D72
	v_mfma_i32_16x16x32_i8 v[196:199], a[112:113], v[188:189], v[196:199]// 00000000A0E4: D3D700C4 0F137970
	buffer_load_dword v13, v5, s[16:19], 0 offen               // 00000000A0EC: E0501000 80040D05
	v_mfma_i32_16x16x32_i8 v[196:199], a[114:115], v[190:191], v[196:199]// 00000000A0F4: D3D700C4 0F137D72
	v_mfma_i32_16x16x32_i8 v[200:203], a[116:117], v[156:157], v[200:203]// 00000000A0FC: D3D700C8 0F233974
	buffer_load_dwordx4 a[244:247], v43, s[12:15], 0 offen     // 00000000A104: E05C1000 8083F42B
	v_mfma_i32_16x16x32_i8 v[200:203], a[118:119], v[158:159], v[200:203]// 00000000A10C: D3D700C8 0F233D76
	v_mfma_i32_16x16x32_i8 v[204:207], a[116:117], v[188:189], v[204:207]// 00000000A114: D3D700CC 0F337974
	v_mfma_i32_16x16x32_i8 v[204:207], a[118:119], v[190:191], v[204:207]// 00000000A11C: D3D700CC 0F337D76
	v_mfma_i32_16x16x32_i8 v[208:211], a[120:121], v[156:157], v[208:211]// 00000000A124: D3D700D0 0F433978
	buffer_load_dwordx4 a[248:251], v44, s[12:15], 0 offen     // 00000000A12C: E05C1000 8083F82C
	v_mfma_i32_16x16x32_i8 v[208:211], a[122:123], v[158:159], v[208:211]// 00000000A134: D3D700D0 0F433D7A
	v_mfma_i32_16x16x32_i8 v[212:215], a[120:121], v[188:189], v[212:215]// 00000000A13C: D3D700D4 0F537978
	v_mfma_i32_16x16x32_i8 v[212:215], a[122:123], v[190:191], v[212:215]// 00000000A144: D3D700D4 0F537D7A
	v_mfma_i32_16x16x32_i8 v[216:219], a[124:125], v[156:157], v[216:219]// 00000000A14C: D3D700D8 0F63397C
	buffer_load_dwordx4 a[252:255], v45, s[12:15], 0 offen     // 00000000A154: E05C1000 8083FC2D
	v_mfma_i32_16x16x32_i8 v[216:219], a[126:127], v[158:159], v[216:219]// 00000000A15C: D3D700D8 0F633D7E
	v_mfma_i32_16x16x32_i8 v[220:223], a[124:125], v[188:189], v[220:223]// 00000000A164: D3D700DC 0F73797C
	v_mfma_i32_16x16x32_i8 v[220:223], a[126:127], v[190:191], v[220:223]// 00000000A16C: D3D700DC 0F737D7E
	s_add_u32 s60, 0x200, s80                                  // 00000000A174: 803C50FF 00000200
	s_cmp_lt_u32 s60, s81                                      // 00000000A17C: BF0A513C
	s_cselect_b32 s56, s56, 0                                  // 00000000A180: 85388038
	s_cselect_b32 s78, s78, 0                                  // 00000000A184: 854E804E
	s_cselect_b32 s79, s79, 0                                  // 00000000A188: 854F804F
	s_add_u32 s12, s56, s12                                    // 00000000A18C: 800C0C38
	s_addc_u32 s13, 0, s13                                     // 00000000A190: 820D0D80
	s_add_u32 s16, s79, s16                                    // 00000000A194: 8010104F
	s_addc_u32 s17, 0, s17                                     // 00000000A198: 82111180
	v_cvt_f32_i32_e32 v192, v192                               // 00000000A19C: 7F800BC0
	v_cvt_f32_i32_e32 v193, v193                               // 00000000A1A0: 7F820BC1
	v_cvt_f32_i32_e32 v194, v194                               // 00000000A1A4: 7F840BC2
	v_cvt_f32_i32_e32 v195, v195                               // 00000000A1A8: 7F860BC3
	v_mul_f32_e32 v192, v24, v192                              // 00000000A1AC: 0B818118
	v_mul_f32_e32 v193, v24, v193                              // 00000000A1B0: 0B838318
	v_mul_f32_e32 v194, v24, v194                              // 00000000A1B4: 0B858518
	v_mul_f32_e32 v195, v24, v195                              // 00000000A1B8: 0B878718
	v_mul_f32_dpp v192, v12, v192 row_newbcast:0 row_mask:0xf bank_mask:0xf// 00000000A1BC: 0B8180FA FF01500C
	v_mul_f32_dpp v193, v12, v193 row_newbcast:1 row_mask:0xf bank_mask:0xf// 00000000A1C4: 0B8382FA FF01510C
	v_mul_f32_dpp v194, v12, v194 row_newbcast:2 row_mask:0xf bank_mask:0xf// 00000000A1CC: 0B8584FA FF01520C
	v_mul_f32_dpp v195, v12, v195 row_newbcast:3 row_mask:0xf bank_mask:0xf// 00000000A1D4: 0B8786FA FF01530C
	v_mul_f32_e32 v192, v20, v192                              // 00000000A1DC: 0B818114
	v_mul_f32_e32 v193, v20, v193                              // 00000000A1E0: 0B838314
	v_mul_f32_e32 v194, v20, v194                              // 00000000A1E4: 0B858514
	v_mul_f32_e32 v195, v20, v195                              // 00000000A1E8: 0B878714
	v_cvt_f32_i32_e32 v196, v196                               // 00000000A1EC: 7F880BC4
	v_cvt_f32_i32_e32 v197, v197                               // 00000000A1F0: 7F8A0BC5
	v_cvt_f32_i32_e32 v198, v198                               // 00000000A1F4: 7F8C0BC6
	v_cvt_f32_i32_e32 v199, v199                               // 00000000A1F8: 7F8E0BC7
	v_mul_f32_e32 v196, v25, v196                              // 00000000A1FC: 0B898919
	v_mul_f32_e32 v197, v25, v197                              // 00000000A200: 0B8B8B19
	v_mul_f32_e32 v198, v25, v198                              // 00000000A204: 0B8D8D19
	v_mul_f32_e32 v199, v25, v199                              // 00000000A208: 0B8F8F19
	v_mul_f32_dpp v196, v12, v196 row_newbcast:0 row_mask:0xf bank_mask:0xf// 00000000A20C: 0B8988FA FF01500C
	v_mul_f32_dpp v197, v12, v197 row_newbcast:1 row_mask:0xf bank_mask:0xf// 00000000A214: 0B8B8AFA FF01510C
	v_mul_f32_dpp v198, v12, v198 row_newbcast:2 row_mask:0xf bank_mask:0xf// 00000000A21C: 0B8D8CFA FF01520C
	v_mul_f32_dpp v199, v12, v199 row_newbcast:3 row_mask:0xf bank_mask:0xf// 00000000A224: 0B8F8EFA FF01530C
	v_mul_f32_e32 v196, v21, v196                              // 00000000A22C: 0B898915
	v_mul_f32_e32 v197, v21, v197                              // 00000000A230: 0B8B8B15
	v_mul_f32_e32 v198, v21, v198                              // 00000000A234: 0B8D8D15
	v_mul_f32_e32 v199, v21, v199                              // 00000000A238: 0B8F8F15
	v_cvt_f32_i32_e32 v200, v200                               // 00000000A23C: 7F900BC8
	v_cvt_f32_i32_e32 v201, v201                               // 00000000A240: 7F920BC9
	v_cvt_f32_i32_e32 v202, v202                               // 00000000A244: 7F940BCA
	v_cvt_f32_i32_e32 v203, v203                               // 00000000A248: 7F960BCB
	v_mul_f32_e32 v200, v24, v200                              // 00000000A24C: 0B919118
	v_mul_f32_e32 v201, v24, v201                              // 00000000A250: 0B939318
	v_mul_f32_e32 v202, v24, v202                              // 00000000A254: 0B959518
	v_mul_f32_e32 v203, v24, v203                              // 00000000A258: 0B979718
	v_mul_f32_dpp v200, v12, v200 row_newbcast:4 row_mask:0xf bank_mask:0xf// 00000000A25C: 0B9190FA FF01540C
	v_mul_f32_dpp v201, v12, v201 row_newbcast:5 row_mask:0xf bank_mask:0xf// 00000000A264: 0B9392FA FF01550C
	v_mul_f32_dpp v202, v12, v202 row_newbcast:6 row_mask:0xf bank_mask:0xf// 00000000A26C: 0B9594FA FF01560C
	v_mul_f32_dpp v203, v12, v203 row_newbcast:7 row_mask:0xf bank_mask:0xf// 00000000A274: 0B9796FA FF01570C
	v_mul_f32_e32 v200, v20, v200                              // 00000000A27C: 0B919114
	v_mul_f32_e32 v201, v20, v201                              // 00000000A280: 0B939314
	v_mul_f32_e32 v202, v20, v202                              // 00000000A284: 0B959514
	v_mul_f32_e32 v203, v20, v203                              // 00000000A288: 0B979714
	v_cvt_f32_i32_e32 v204, v204                               // 00000000A28C: 7F980BCC
	v_cvt_f32_i32_e32 v205, v205                               // 00000000A290: 7F9A0BCD
	v_cvt_f32_i32_e32 v206, v206                               // 00000000A294: 7F9C0BCE
	v_cvt_f32_i32_e32 v207, v207                               // 00000000A298: 7F9E0BCF
	v_mul_f32_e32 v204, v25, v204                              // 00000000A29C: 0B999919
	v_mul_f32_e32 v205, v25, v205                              // 00000000A2A0: 0B9B9B19
	v_mul_f32_e32 v206, v25, v206                              // 00000000A2A4: 0B9D9D19
	v_mul_f32_e32 v207, v25, v207                              // 00000000A2A8: 0B9F9F19
	v_mul_f32_dpp v204, v12, v204 row_newbcast:4 row_mask:0xf bank_mask:0xf// 00000000A2AC: 0B9998FA FF01540C
	v_mul_f32_dpp v205, v12, v205 row_newbcast:5 row_mask:0xf bank_mask:0xf// 00000000A2B4: 0B9B9AFA FF01550C
	v_mul_f32_dpp v206, v12, v206 row_newbcast:6 row_mask:0xf bank_mask:0xf// 00000000A2BC: 0B9D9CFA FF01560C
	v_mul_f32_dpp v207, v12, v207 row_newbcast:7 row_mask:0xf bank_mask:0xf// 00000000A2C4: 0B9F9EFA FF01570C
	v_mul_f32_e32 v204, v21, v204                              // 00000000A2CC: 0B999915
	v_mul_f32_e32 v205, v21, v205                              // 00000000A2D0: 0B9B9B15
	v_mul_f32_e32 v206, v21, v206                              // 00000000A2D4: 0B9D9D15
	v_mul_f32_e32 v207, v21, v207                              // 00000000A2D8: 0B9F9F15
	v_cvt_f32_i32_e32 v208, v208                               // 00000000A2DC: 7FA00BD0
	v_cvt_f32_i32_e32 v209, v209                               // 00000000A2E0: 7FA20BD1
	v_cvt_f32_i32_e32 v210, v210                               // 00000000A2E4: 7FA40BD2
	v_cvt_f32_i32_e32 v211, v211                               // 00000000A2E8: 7FA60BD3
	v_mul_f32_e32 v208, v24, v208                              // 00000000A2EC: 0BA1A118
	v_mul_f32_e32 v209, v24, v209                              // 00000000A2F0: 0BA3A318
	v_mul_f32_e32 v210, v24, v210                              // 00000000A2F4: 0BA5A518
	v_mul_f32_e32 v211, v24, v211                              // 00000000A2F8: 0BA7A718
	v_mul_f32_dpp v208, v12, v208 row_newbcast:8 row_mask:0xf bank_mask:0xf// 00000000A2FC: 0BA1A0FA FF01580C
	v_mul_f32_dpp v209, v12, v209 row_newbcast:9 row_mask:0xf bank_mask:0xf// 00000000A304: 0BA3A2FA FF01590C
	v_mul_f32_dpp v210, v12, v210 row_newbcast:10 row_mask:0xf bank_mask:0xf// 00000000A30C: 0BA5A4FA FF015A0C
	v_mul_f32_dpp v211, v12, v211 row_newbcast:11 row_mask:0xf bank_mask:0xf// 00000000A314: 0BA7A6FA FF015B0C
	v_mul_f32_e32 v208, v20, v208                              // 00000000A31C: 0BA1A114
	v_mul_f32_e32 v209, v20, v209                              // 00000000A320: 0BA3A314
	v_mul_f32_e32 v210, v20, v210                              // 00000000A324: 0BA5A514
	v_mul_f32_e32 v211, v20, v211                              // 00000000A328: 0BA7A714
	v_cvt_f32_i32_e32 v212, v212                               // 00000000A32C: 7FA80BD4
	v_cvt_f32_i32_e32 v213, v213                               // 00000000A330: 7FAA0BD5
	v_cvt_f32_i32_e32 v214, v214                               // 00000000A334: 7FAC0BD6
	v_cvt_f32_i32_e32 v215, v215                               // 00000000A338: 7FAE0BD7
	v_mul_f32_e32 v212, v25, v212                              // 00000000A33C: 0BA9A919
	v_mul_f32_e32 v213, v25, v213                              // 00000000A340: 0BABAB19
	v_mul_f32_e32 v214, v25, v214                              // 00000000A344: 0BADAD19
	v_mul_f32_e32 v215, v25, v215                              // 00000000A348: 0BAFAF19
	v_mul_f32_dpp v212, v12, v212 row_newbcast:8 row_mask:0xf bank_mask:0xf// 00000000A34C: 0BA9A8FA FF01580C
	v_mul_f32_dpp v213, v12, v213 row_newbcast:9 row_mask:0xf bank_mask:0xf// 00000000A354: 0BABAAFA FF01590C
	v_mul_f32_dpp v214, v12, v214 row_newbcast:10 row_mask:0xf bank_mask:0xf// 00000000A35C: 0BADACFA FF015A0C
	v_mul_f32_dpp v215, v12, v215 row_newbcast:11 row_mask:0xf bank_mask:0xf// 00000000A364: 0BAFAEFA FF015B0C
	v_mul_f32_e32 v212, v21, v212                              // 00000000A36C: 0BA9A915
	v_mul_f32_e32 v213, v21, v213                              // 00000000A370: 0BABAB15
	v_mul_f32_e32 v214, v21, v214                              // 00000000A374: 0BADAD15
	v_mul_f32_e32 v215, v21, v215                              // 00000000A378: 0BAFAF15
	v_cvt_f32_i32_e32 v216, v216                               // 00000000A37C: 7FB00BD8
	v_cvt_f32_i32_e32 v217, v217                               // 00000000A380: 7FB20BD9
	v_cvt_f32_i32_e32 v218, v218                               // 00000000A384: 7FB40BDA
	v_cvt_f32_i32_e32 v219, v219                               // 00000000A388: 7FB60BDB
	v_mul_f32_e32 v216, v24, v216                              // 00000000A38C: 0BB1B118
	v_mul_f32_e32 v217, v24, v217                              // 00000000A390: 0BB3B318
	v_mul_f32_e32 v218, v24, v218                              // 00000000A394: 0BB5B518
	v_mul_f32_e32 v219, v24, v219                              // 00000000A398: 0BB7B718
	v_mul_f32_dpp v216, v12, v216 row_newbcast:12 row_mask:0xf bank_mask:0xf// 00000000A39C: 0BB1B0FA FF015C0C
	v_mul_f32_dpp v217, v12, v217 row_newbcast:13 row_mask:0xf bank_mask:0xf// 00000000A3A4: 0BB3B2FA FF015D0C
	v_mul_f32_dpp v218, v12, v218 row_newbcast:14 row_mask:0xf bank_mask:0xf// 00000000A3AC: 0BB5B4FA FF015E0C
	v_mul_f32_dpp v219, v12, v219 row_newbcast:15 row_mask:0xf bank_mask:0xf// 00000000A3B4: 0BB7B6FA FF015F0C
	v_mul_f32_e32 v216, v20, v216                              // 00000000A3BC: 0BB1B114
	v_mul_f32_e32 v217, v20, v217                              // 00000000A3C0: 0BB3B314
	v_mul_f32_e32 v218, v20, v218                              // 00000000A3C4: 0BB5B514
	v_mul_f32_e32 v219, v20, v219                              // 00000000A3C8: 0BB7B714
	v_cvt_f32_i32_e32 v220, v220                               // 00000000A3CC: 7FB80BDC
	v_cvt_f32_i32_e32 v221, v221                               // 00000000A3D0: 7FBA0BDD
	v_cvt_f32_i32_e32 v222, v222                               // 00000000A3D4: 7FBC0BDE
	v_cvt_f32_i32_e32 v223, v223                               // 00000000A3D8: 7FBE0BDF
	v_mul_f32_e32 v220, v25, v220                              // 00000000A3DC: 0BB9B919
	v_mul_f32_e32 v221, v25, v221                              // 00000000A3E0: 0BBBBB19
	v_mul_f32_e32 v222, v25, v222                              // 00000000A3E4: 0BBDBD19
	v_mul_f32_e32 v223, v25, v223                              // 00000000A3E8: 0BBFBF19
	v_mul_f32_dpp v220, v12, v220 row_newbcast:12 row_mask:0xf bank_mask:0xf// 00000000A3EC: 0BB9B8FA FF015C0C
	v_mul_f32_dpp v221, v12, v221 row_newbcast:13 row_mask:0xf bank_mask:0xf// 00000000A3F4: 0BBBBAFA FF015D0C
	v_mul_f32_dpp v222, v12, v222 row_newbcast:14 row_mask:0xf bank_mask:0xf// 00000000A3FC: 0BBDBCFA FF015E0C
	v_mul_f32_dpp v223, v12, v223 row_newbcast:15 row_mask:0xf bank_mask:0xf// 00000000A404: 0BBFBEFA FF015F0C
	v_mul_f32_e32 v220, v21, v220                              // 00000000A40C: 0BB9B915
	v_mul_f32_e32 v221, v21, v221                              // 00000000A410: 0BBBBB15
	v_mul_f32_e32 v222, v21, v222                              // 00000000A414: 0BBDBD15
	v_mul_f32_e32 v223, v21, v223                              // 00000000A418: 0BBFBF15
	v_cvt_pkrtz_f16_f32 v192, v192, v193                       // 00000000A41C: D29600C0 000383C0
	v_cvt_pkrtz_f16_f32 v193, v194, v195                       // 00000000A424: D29600C1 000387C2
	v_cvt_pkrtz_f16_f32 v194, v196, v197                       // 00000000A42C: D29600C2 00038BC4
	v_cvt_pkrtz_f16_f32 v195, v198, v199                       // 00000000A434: D29600C3 00038FC6
	v_cvt_pkrtz_f16_f32 v196, v200, v201                       // 00000000A43C: D29600C4 000393C8
	v_cvt_pkrtz_f16_f32 v197, v202, v203                       // 00000000A444: D29600C5 000397CA
	v_cvt_pkrtz_f16_f32 v198, v204, v205                       // 00000000A44C: D29600C6 00039BCC
	v_cvt_pkrtz_f16_f32 v199, v206, v207                       // 00000000A454: D29600C7 00039FCE
	v_cvt_pkrtz_f16_f32 v200, v208, v209                       // 00000000A45C: D29600C8 0003A3D0
	v_cvt_pkrtz_f16_f32 v201, v210, v211                       // 00000000A464: D29600C9 0003A7D2
	v_cvt_pkrtz_f16_f32 v202, v212, v213                       // 00000000A46C: D29600CA 0003ABD4
	v_cvt_pkrtz_f16_f32 v203, v214, v215                       // 00000000A474: D29600CB 0003AFD6
	v_cvt_pkrtz_f16_f32 v204, v216, v217                       // 00000000A47C: D29600CC 0003B3D8
	v_cvt_pkrtz_f16_f32 v205, v218, v219                       // 00000000A484: D29600CD 0003B7DA
	v_cvt_pkrtz_f16_f32 v206, v220, v221                       // 00000000A48C: D29600CE 0003BBDC
	v_cvt_pkrtz_f16_f32 v207, v222, v223                       // 00000000A494: D29600CF 0003BFDE
	ds_write_b64 v3, v[192:193] offset:35072                   // 00000000A49C: D89A8900 0000C003
	ds_write_b64 v3, v[194:195] offset:43776                   // 00000000A4A4: D89AAB00 0000C203
	ds_write_b64 v3, v[196:197] offset:37248                   // 00000000A4AC: D89A9180 0000C403
	ds_write_b64 v3, v[198:199] offset:45952                   // 00000000A4B4: D89AB380 0000C603
	ds_write_b64 v3, v[200:201] offset:39424                   // 00000000A4BC: D89A9A00 0000C803
	ds_write_b64 v3, v[202:203] offset:48128                   // 00000000A4C4: D89ABC00 0000CA03
	ds_write_b64 v3, v[204:205] offset:41600                   // 00000000A4CC: D89AA280 0000CC03
	ds_write_b64 v3, v[206:207] offset:50304                   // 00000000A4D4: D89AC480 0000CE03
	s_waitcnt lgkmcnt(0)                                       // 00000000A4DC: BF8CC07F
	s_barrier                                                  // 00000000A4E0: BF8A0000
	ds_read_b32 v64, v4 offset:35072                           // 00000000A4E4: D86C8900 40000004
	ds_read_b32 v65, v4 offset:39424                           // 00000000A4EC: D86C9A00 41000004
	ds_read_b32 v66, v4 offset:35104                           // 00000000A4F4: D86C8920 42000004
	ds_read_b32 v67, v4 offset:39456                           // 00000000A4FC: D86C9A20 43000004
	ds_read_b32 v68, v4 offset:35136                           // 00000000A504: D86C8940 44000004
	ds_read_b32 v69, v4 offset:39488                           // 00000000A50C: D86C9A40 45000004
	ds_read_b32 v70, v4 offset:35168                           // 00000000A514: D86C8960 46000004
	ds_read_b32 v71, v4 offset:39520                           // 00000000A51C: D86C9A60 47000004
	ds_read_b32 v72, v4 offset:43776                           // 00000000A524: D86CAB00 48000004
	ds_read_b32 v73, v4 offset:48128                           // 00000000A52C: D86CBC00 49000004
	ds_read_b32 v74, v4 offset:43808                           // 00000000A534: D86CAB20 4A000004
	ds_read_b32 v75, v4 offset:48160                           // 00000000A53C: D86CBC20 4B000004
	ds_read_b32 v76, v4 offset:43840                           // 00000000A544: D86CAB40 4C000004
	ds_read_b32 v77, v4 offset:48192                           // 00000000A54C: D86CBC40 4D000004
	ds_read_b32 v78, v4 offset:43872                           // 00000000A554: D86CAB60 4E000004
	ds_read_b32 v79, v4 offset:48224                           // 00000000A55C: D86CBC60 4F000004
	s_waitcnt lgkmcnt(0)                                       // 00000000A564: BF8CC07F
	s_mov_b64 exec, s[20:21]                                   // 00000000A568: BEFE0114
	global_atomic_pk_add_f16 v80, v64, s[8:9]                  // 00000000A56C: DD388000 00084050
	s_mov_b64 exec, s[36:37]                                   // 00000000A574: BEFE0124
	s_mov_b64 exec, s[20:21]                                   // 00000000A578: BEFE0114
	global_atomic_pk_add_f16 v80, v65, s[8:9] offset:256       // 00000000A57C: DD388100 00084150
	s_mov_b64 exec, s[36:37]                                   // 00000000A584: BEFE0124
	s_mov_b64 exec, s[22:23]                                   // 00000000A588: BEFE0116
	global_atomic_pk_add_f16 v82, v66, s[8:9]                  // 00000000A58C: DD388000 00084252
	s_mov_b64 exec, s[36:37]                                   // 00000000A594: BEFE0124
	s_mov_b64 exec, s[22:23]                                   // 00000000A598: BEFE0116
	global_atomic_pk_add_f16 v82, v67, s[8:9] offset:256       // 00000000A59C: DD388100 00084352
	s_mov_b64 exec, s[36:37]                                   // 00000000A5A4: BEFE0124
	s_mov_b64 exec, s[24:25]                                   // 00000000A5A8: BEFE0118
	global_atomic_pk_add_f16 v84, v68, s[8:9]                  // 00000000A5AC: DD388000 00084454
	s_mov_b64 exec, s[36:37]                                   // 00000000A5B4: BEFE0124
	s_mov_b64 exec, s[24:25]                                   // 00000000A5B8: BEFE0118
	global_atomic_pk_add_f16 v84, v69, s[8:9] offset:256       // 00000000A5BC: DD388100 00084554
	s_mov_b64 exec, s[36:37]                                   // 00000000A5C4: BEFE0124
	s_mov_b64 exec, s[26:27]                                   // 00000000A5C8: BEFE011A
	global_atomic_pk_add_f16 v86, v70, s[8:9]                  // 00000000A5CC: DD388000 00084656
	s_mov_b64 exec, s[36:37]                                   // 00000000A5D4: BEFE0124
	s_mov_b64 exec, s[26:27]                                   // 00000000A5D8: BEFE011A
	global_atomic_pk_add_f16 v86, v71, s[8:9] offset:256       // 00000000A5DC: DD388100 00084756
	s_mov_b64 exec, s[36:37]                                   // 00000000A5E4: BEFE0124
	s_mov_b64 exec, s[28:29]                                   // 00000000A5E8: BEFE011C
	global_atomic_pk_add_f16 v88, v72, s[8:9]                  // 00000000A5EC: DD388000 00084858
	s_mov_b64 exec, s[36:37]                                   // 00000000A5F4: BEFE0124
	s_mov_b64 exec, s[28:29]                                   // 00000000A5F8: BEFE011C
	global_atomic_pk_add_f16 v88, v73, s[8:9] offset:256       // 00000000A5FC: DD388100 00084958
	s_mov_b64 exec, s[36:37]                                   // 00000000A604: BEFE0124
	s_mov_b64 exec, s[30:31]                                   // 00000000A608: BEFE011E
	global_atomic_pk_add_f16 v90, v74, s[8:9]                  // 00000000A60C: DD388000 00084A5A
	s_mov_b64 exec, s[36:37]                                   // 00000000A614: BEFE0124
	s_mov_b64 exec, s[30:31]                                   // 00000000A618: BEFE011E
	global_atomic_pk_add_f16 v90, v75, s[8:9] offset:256       // 00000000A61C: DD388100 00084B5A
	s_mov_b64 exec, s[36:37]                                   // 00000000A624: BEFE0124
	s_mov_b64 exec, s[32:33]                                   // 00000000A628: BEFE0120
	global_atomic_pk_add_f16 v92, v76, s[8:9]                  // 00000000A62C: DD388000 00084C5C
	s_mov_b64 exec, s[36:37]                                   // 00000000A634: BEFE0124
	s_mov_b64 exec, s[32:33]                                   // 00000000A638: BEFE0120
	global_atomic_pk_add_f16 v92, v77, s[8:9] offset:256       // 00000000A63C: DD388100 00084D5C
	s_mov_b64 exec, s[36:37]                                   // 00000000A644: BEFE0124
	s_mov_b64 exec, s[34:35]                                   // 00000000A648: BEFE0122
	global_atomic_pk_add_f16 v94, v78, s[8:9]                  // 00000000A64C: DD388000 00084E5E
	s_mov_b64 exec, s[36:37]                                   // 00000000A654: BEFE0124
	s_mov_b64 exec, s[34:35]                                   // 00000000A658: BEFE0122
	global_atomic_pk_add_f16 v94, v79, s[8:9] offset:256       // 00000000A65C: DD388100 00084F5E
	s_mov_b64 exec, s[36:37]                                   // 00000000A664: BEFE0124
	s_add_u32 s8, s59, s8                                      // 00000000A668: 8008083B
	s_addc_u32 s9, 0, s9                                       // 00000000A66C: 82090980
	s_addk_i32 s80, 0x100                                      // 00000000A670: B7500100
	s_cmp_lt_i32 s80, s81                                      // 00000000A674: BF045150
	s_cbranch_scc0 label_11D7                                  // 00000000A678: BF84F3B8
	s_waitcnt vmcnt(45)                                        // 00000000A67C: BF8C8F7D
	s_barrier                                                  // 00000000A680: BF8A0000
	v_mfma_i32_16x16x32_i8 v[224:227], a[128:129], v[128:129], 0// 00000000A684: D3D700E0 0A030180
	buffer_load_dwordx4 a[0:3], v42, s[12:15], 0 offen         // 00000000A68C: E05C1000 8083002A
	v_mfma_i32_16x16x32_i8 v[224:227], a[130:131], v[130:131], v[224:227]// 00000000A694: D3D700E0 0F830582
	v_mfma_i32_16x16x32_i8 v[228:231], a[128:129], v[160:161], 0// 00000000A69C: D3D700E4 0A034180
	v_mfma_i32_16x16x32_i8 v[228:231], a[130:131], v[162:163], v[228:231]// 00000000A6A4: D3D700E4 0F934582
	v_mfma_i32_16x16x32_i8 v[232:235], a[132:133], v[128:129], 0// 00000000A6AC: D3D700E8 0A030184
	buffer_load_dwordx4 a[4:7], v43, s[12:15], 0 offen         // 00000000A6B4: E05C1000 8083042B
	v_mfma_i32_16x16x32_i8 v[232:235], a[134:135], v[130:131], v[232:235]// 00000000A6BC: D3D700E8 0FA30586
	v_mfma_i32_16x16x32_i8 v[236:239], a[132:133], v[160:161], 0// 00000000A6C4: D3D700EC 0A034184
	v_mfma_i32_16x16x32_i8 v[236:239], a[134:135], v[162:163], v[236:239]// 00000000A6CC: D3D700EC 0FB34586
	v_mfma_i32_16x16x32_i8 v[240:243], a[136:137], v[128:129], 0// 00000000A6D4: D3D700F0 0A030188
	buffer_load_dwordx4 a[8:11], v44, s[12:15], 0 offen        // 00000000A6DC: E05C1000 8083082C
	v_mfma_i32_16x16x32_i8 v[240:243], a[138:139], v[130:131], v[240:243]// 00000000A6E4: D3D700F0 0FC3058A
	v_mfma_i32_16x16x32_i8 v[244:247], a[136:137], v[160:161], 0// 00000000A6EC: D3D700F4 0A034188
	v_mfma_i32_16x16x32_i8 v[244:247], a[138:139], v[162:163], v[244:247]// 00000000A6F4: D3D700F4 0FD3458A
	v_mfma_i32_16x16x32_i8 v[248:251], a[140:141], v[128:129], 0// 00000000A6FC: D3D700F8 0A03018C
	buffer_load_dwordx4 a[12:15], v45, s[12:15], 0 offen       // 00000000A704: E05C1000 80830C2D
	s_add_u32 s12, s78, s12                                    // 00000000A70C: 800C0C4E
	s_addc_u32 s13, 0, s13                                     // 00000000A710: 820D0D80
	v_mfma_i32_16x16x32_i8 v[248:251], a[142:143], v[130:131], v[248:251]// 00000000A714: D3D700F8 0FE3058E
	v_mfma_i32_16x16x32_i8 v[252:255], a[140:141], v[160:161], 0// 00000000A71C: D3D700FC 0A03418C
	v_mfma_i32_16x16x32_i8 v[252:255], a[142:143], v[162:163], v[252:255]// 00000000A724: D3D700FC 0FF3458E
	s_waitcnt vmcnt(45)                                        // 00000000A72C: BF8C8F7D
	v_mfma_i32_16x16x32_i8 v[224:227], a[144:145], v[132:133], v[224:227]// 00000000A730: D3D700E0 0F830990
	buffer_load_dwordx4 a[16:19], v42, s[12:15], 0 offen       // 00000000A738: E05C1000 8083102A
	v_mfma_i32_16x16x32_i8 v[224:227], a[146:147], v[134:135], v[224:227]// 00000000A740: D3D700E0 0F830D92
	v_mfma_i32_16x16x32_i8 v[228:231], a[144:145], v[164:165], v[228:231]// 00000000A748: D3D700E4 0F934990
	v_mfma_i32_16x16x32_i8 v[228:231], a[146:147], v[166:167], v[228:231]// 00000000A750: D3D700E4 0F934D92
	v_mfma_i32_16x16x32_i8 v[232:235], a[148:149], v[132:133], v[232:235]// 00000000A758: D3D700E8 0FA30994
	buffer_load_dwordx4 a[20:23], v43, s[12:15], 0 offen       // 00000000A760: E05C1000 8083142B
	v_mfma_i32_16x16x32_i8 v[232:235], a[150:151], v[134:135], v[232:235]// 00000000A768: D3D700E8 0FA30D96
	v_mfma_i32_16x16x32_i8 v[236:239], a[148:149], v[164:165], v[236:239]// 00000000A770: D3D700EC 0FB34994
	v_mfma_i32_16x16x32_i8 v[236:239], a[150:151], v[166:167], v[236:239]// 00000000A778: D3D700EC 0FB34D96
	v_mfma_i32_16x16x32_i8 v[240:243], a[152:153], v[132:133], v[240:243]// 00000000A780: D3D700F0 0FC30998
	buffer_load_dwordx4 a[24:27], v44, s[12:15], 0 offen       // 00000000A788: E05C1000 8083182C
	v_mfma_i32_16x16x32_i8 v[240:243], a[154:155], v[134:135], v[240:243]// 00000000A790: D3D700F0 0FC30D9A
	v_mfma_i32_16x16x32_i8 v[244:247], a[152:153], v[164:165], v[244:247]// 00000000A798: D3D700F4 0FD34998
	v_mfma_i32_16x16x32_i8 v[244:247], a[154:155], v[166:167], v[244:247]// 00000000A7A0: D3D700F4 0FD34D9A
	v_mfma_i32_16x16x32_i8 v[248:251], a[156:157], v[132:133], v[248:251]// 00000000A7A8: D3D700F8 0FE3099C
	buffer_load_dwordx4 a[28:31], v45, s[12:15], 0 offen       // 00000000A7B0: E05C1000 80831C2D
	s_add_u32 s12, s78, s12                                    // 00000000A7B8: 800C0C4E
	s_addc_u32 s13, 0, s13                                     // 00000000A7BC: 820D0D80
	v_mfma_i32_16x16x32_i8 v[248:251], a[158:159], v[134:135], v[248:251]// 00000000A7C0: D3D700F8 0FE30D9E
	v_mfma_i32_16x16x32_i8 v[252:255], a[156:157], v[164:165], v[252:255]// 00000000A7C8: D3D700FC 0FF3499C
	v_mfma_i32_16x16x32_i8 v[252:255], a[158:159], v[166:167], v[252:255]// 00000000A7D0: D3D700FC 0FF34D9E
	s_waitcnt vmcnt(45)                                        // 00000000A7D8: BF8C8F7D
	v_mfma_i32_16x16x32_i8 v[224:227], a[160:161], v[136:137], v[224:227]// 00000000A7DC: D3D700E0 0F8311A0
	buffer_load_dwordx4 a[32:35], v42, s[12:15], 0 offen       // 00000000A7E4: E05C1000 8083202A
	v_mfma_i32_16x16x32_i8 v[224:227], a[162:163], v[138:139], v[224:227]// 00000000A7EC: D3D700E0 0F8315A2
	v_mfma_i32_16x16x32_i8 v[228:231], a[160:161], v[168:169], v[228:231]// 00000000A7F4: D3D700E4 0F9351A0
	v_mfma_i32_16x16x32_i8 v[228:231], a[162:163], v[170:171], v[228:231]// 00000000A7FC: D3D700E4 0F9355A2
	v_mfma_i32_16x16x32_i8 v[232:235], a[164:165], v[136:137], v[232:235]// 00000000A804: D3D700E8 0FA311A4
	buffer_load_dwordx4 a[36:39], v43, s[12:15], 0 offen       // 00000000A80C: E05C1000 8083242B
	v_mfma_i32_16x16x32_i8 v[232:235], a[166:167], v[138:139], v[232:235]// 00000000A814: D3D700E8 0FA315A6
	v_mfma_i32_16x16x32_i8 v[236:239], a[164:165], v[168:169], v[236:239]// 00000000A81C: D3D700EC 0FB351A4
	v_mfma_i32_16x16x32_i8 v[236:239], a[166:167], v[170:171], v[236:239]// 00000000A824: D3D700EC 0FB355A6
	v_mfma_i32_16x16x32_i8 v[240:243], a[168:169], v[136:137], v[240:243]// 00000000A82C: D3D700F0 0FC311A8
	buffer_load_dwordx4 a[40:43], v44, s[12:15], 0 offen       // 00000000A834: E05C1000 8083282C
	v_mfma_i32_16x16x32_i8 v[240:243], a[170:171], v[138:139], v[240:243]// 00000000A83C: D3D700F0 0FC315AA
	v_mfma_i32_16x16x32_i8 v[244:247], a[168:169], v[168:169], v[244:247]// 00000000A844: D3D700F4 0FD351A8
	v_mfma_i32_16x16x32_i8 v[244:247], a[170:171], v[170:171], v[244:247]// 00000000A84C: D3D700F4 0FD355AA
	v_mfma_i32_16x16x32_i8 v[248:251], a[172:173], v[136:137], v[248:251]// 00000000A854: D3D700F8 0FE311AC
	buffer_load_dwordx4 a[44:47], v45, s[12:15], 0 offen       // 00000000A85C: E05C1000 80832C2D
	s_add_u32 s12, s78, s12                                    // 00000000A864: 800C0C4E
	s_addc_u32 s13, 0, s13                                     // 00000000A868: 820D0D80
	v_mfma_i32_16x16x32_i8 v[248:251], a[174:175], v[138:139], v[248:251]// 00000000A86C: D3D700F8 0FE315AE
	v_mfma_i32_16x16x32_i8 v[252:255], a[172:173], v[168:169], v[252:255]// 00000000A874: D3D700FC 0FF351AC
	v_mfma_i32_16x16x32_i8 v[252:255], a[174:175], v[170:171], v[252:255]// 00000000A87C: D3D700FC 0FF355AE
	s_waitcnt vmcnt(45)                                        // 00000000A884: BF8C8F7D
	v_mfma_i32_16x16x32_i8 v[224:227], a[176:177], v[140:141], v[224:227]// 00000000A888: D3D700E0 0F8319B0
	buffer_load_dwordx4 a[48:51], v42, s[12:15], 0 offen       // 00000000A890: E05C1000 8083302A
	v_mfma_i32_16x16x32_i8 v[224:227], a[178:179], v[142:143], v[224:227]// 00000000A898: D3D700E0 0F831DB2
	v_mfma_i32_16x16x32_i8 v[228:231], a[176:177], v[172:173], v[228:231]// 00000000A8A0: D3D700E4 0F9359B0
	v_mfma_i32_16x16x32_i8 v[228:231], a[178:179], v[174:175], v[228:231]// 00000000A8A8: D3D700E4 0F935DB2
	v_mfma_i32_16x16x32_i8 v[232:235], a[180:181], v[140:141], v[232:235]// 00000000A8B0: D3D700E8 0FA319B4
	buffer_load_dwordx4 a[52:55], v43, s[12:15], 0 offen       // 00000000A8B8: E05C1000 8083342B
	v_mfma_i32_16x16x32_i8 v[232:235], a[182:183], v[142:143], v[232:235]// 00000000A8C0: D3D700E8 0FA31DB6
	v_mfma_i32_16x16x32_i8 v[236:239], a[180:181], v[172:173], v[236:239]// 00000000A8C8: D3D700EC 0FB359B4
	v_mfma_i32_16x16x32_i8 v[236:239], a[182:183], v[174:175], v[236:239]// 00000000A8D0: D3D700EC 0FB35DB6
	v_mfma_i32_16x16x32_i8 v[240:243], a[184:185], v[140:141], v[240:243]// 00000000A8D8: D3D700F0 0FC319B8
	buffer_load_dwordx4 a[56:59], v44, s[12:15], 0 offen       // 00000000A8E0: E05C1000 8083382C
	v_mfma_i32_16x16x32_i8 v[240:243], a[186:187], v[142:143], v[240:243]// 00000000A8E8: D3D700F0 0FC31DBA
	v_mfma_i32_16x16x32_i8 v[244:247], a[184:185], v[172:173], v[244:247]// 00000000A8F0: D3D700F4 0FD359B8
	v_mfma_i32_16x16x32_i8 v[244:247], a[186:187], v[174:175], v[244:247]// 00000000A8F8: D3D700F4 0FD35DBA
	v_mfma_i32_16x16x32_i8 v[248:251], a[188:189], v[140:141], v[248:251]// 00000000A900: D3D700F8 0FE319BC
	buffer_load_dwordx4 a[60:63], v45, s[12:15], 0 offen       // 00000000A908: E05C1000 80833C2D
	s_add_u32 s12, s78, s12                                    // 00000000A910: 800C0C4E
	s_addc_u32 s13, 0, s13                                     // 00000000A914: 820D0D80
	v_mfma_i32_16x16x32_i8 v[248:251], a[190:191], v[142:143], v[248:251]// 00000000A918: D3D700F8 0FE31DBE
	v_mfma_i32_16x16x32_i8 v[252:255], a[188:189], v[172:173], v[252:255]// 00000000A920: D3D700FC 0FF359BC
	v_mfma_i32_16x16x32_i8 v[252:255], a[190:191], v[174:175], v[252:255]// 00000000A928: D3D700FC 0FF35DBE
	s_waitcnt vmcnt(45)                                        // 00000000A930: BF8C8F7D
	v_mfma_i32_16x16x32_i8 v[224:227], a[192:193], v[144:145], v[224:227]// 00000000A934: D3D700E0 0F8321C0
	buffer_load_dwordx4 a[64:67], v42, s[12:15], 0 offen       // 00000000A93C: E05C1000 8083402A
	v_mfma_i32_16x16x32_i8 v[224:227], a[194:195], v[146:147], v[224:227]// 00000000A944: D3D700E0 0F8325C2
	v_mfma_i32_16x16x32_i8 v[228:231], a[192:193], v[176:177], v[228:231]// 00000000A94C: D3D700E4 0F9361C0
	v_mfma_i32_16x16x32_i8 v[228:231], a[194:195], v[178:179], v[228:231]// 00000000A954: D3D700E4 0F9365C2
	v_mfma_i32_16x16x32_i8 v[232:235], a[196:197], v[144:145], v[232:235]// 00000000A95C: D3D700E8 0FA321C4
	buffer_load_dwordx4 a[68:71], v43, s[12:15], 0 offen       // 00000000A964: E05C1000 8083442B
	v_mfma_i32_16x16x32_i8 v[232:235], a[198:199], v[146:147], v[232:235]// 00000000A96C: D3D700E8 0FA325C6
	v_mfma_i32_16x16x32_i8 v[236:239], a[196:197], v[176:177], v[236:239]// 00000000A974: D3D700EC 0FB361C4
	v_mfma_i32_16x16x32_i8 v[236:239], a[198:199], v[178:179], v[236:239]// 00000000A97C: D3D700EC 0FB365C6
	v_mfma_i32_16x16x32_i8 v[240:243], a[200:201], v[144:145], v[240:243]// 00000000A984: D3D700F0 0FC321C8
	buffer_load_dwordx4 a[72:75], v44, s[12:15], 0 offen       // 00000000A98C: E05C1000 8083482C
	v_mfma_i32_16x16x32_i8 v[240:243], a[202:203], v[146:147], v[240:243]// 00000000A994: D3D700F0 0FC325CA
	v_mfma_i32_16x16x32_i8 v[244:247], a[200:201], v[176:177], v[244:247]// 00000000A99C: D3D700F4 0FD361C8
	v_mfma_i32_16x16x32_i8 v[244:247], a[202:203], v[178:179], v[244:247]// 00000000A9A4: D3D700F4 0FD365CA
	v_mfma_i32_16x16x32_i8 v[248:251], a[204:205], v[144:145], v[248:251]// 00000000A9AC: D3D700F8 0FE321CC
	buffer_load_dwordx4 a[76:79], v45, s[12:15], 0 offen       // 00000000A9B4: E05C1000 80834C2D
	s_add_u32 s12, s78, s12                                    // 00000000A9BC: 800C0C4E
	s_addc_u32 s13, 0, s13                                     // 00000000A9C0: 820D0D80
	v_mfma_i32_16x16x32_i8 v[248:251], a[206:207], v[146:147], v[248:251]// 00000000A9C4: D3D700F8 0FE325CE
	v_mfma_i32_16x16x32_i8 v[252:255], a[204:205], v[176:177], v[252:255]// 00000000A9CC: D3D700FC 0FF361CC
	v_mfma_i32_16x16x32_i8 v[252:255], a[206:207], v[178:179], v[252:255]// 00000000A9D4: D3D700FC 0FF365CE
	s_waitcnt vmcnt(45)                                        // 00000000A9DC: BF8C8F7D
	v_mfma_i32_16x16x32_i8 v[224:227], a[208:209], v[148:149], v[224:227]// 00000000A9E0: D3D700E0 0F8329D0
	buffer_load_dwordx4 a[80:83], v42, s[12:15], 0 offen       // 00000000A9E8: E05C1000 8083502A
	v_mfma_i32_16x16x32_i8 v[224:227], a[210:211], v[150:151], v[224:227]// 00000000A9F0: D3D700E0 0F832DD2
	v_mfma_i32_16x16x32_i8 v[228:231], a[208:209], v[180:181], v[228:231]// 00000000A9F8: D3D700E4 0F9369D0
	v_mfma_i32_16x16x32_i8 v[228:231], a[210:211], v[182:183], v[228:231]// 00000000AA00: D3D700E4 0F936DD2
	v_mfma_i32_16x16x32_i8 v[232:235], a[212:213], v[148:149], v[232:235]// 00000000AA08: D3D700E8 0FA329D4
	buffer_load_dwordx4 a[84:87], v43, s[12:15], 0 offen       // 00000000AA10: E05C1000 8083542B
	v_mfma_i32_16x16x32_i8 v[232:235], a[214:215], v[150:151], v[232:235]// 00000000AA18: D3D700E8 0FA32DD6
	v_mfma_i32_16x16x32_i8 v[236:239], a[212:213], v[180:181], v[236:239]// 00000000AA20: D3D700EC 0FB369D4
	v_mfma_i32_16x16x32_i8 v[236:239], a[214:215], v[182:183], v[236:239]// 00000000AA28: D3D700EC 0FB36DD6
	v_mfma_i32_16x16x32_i8 v[240:243], a[216:217], v[148:149], v[240:243]// 00000000AA30: D3D700F0 0FC329D8
	buffer_load_dwordx4 a[88:91], v44, s[12:15], 0 offen       // 00000000AA38: E05C1000 8083582C
	v_mfma_i32_16x16x32_i8 v[240:243], a[218:219], v[150:151], v[240:243]// 00000000AA40: D3D700F0 0FC32DDA
	v_mfma_i32_16x16x32_i8 v[244:247], a[216:217], v[180:181], v[244:247]// 00000000AA48: D3D700F4 0FD369D8
	v_mfma_i32_16x16x32_i8 v[244:247], a[218:219], v[182:183], v[244:247]// 00000000AA50: D3D700F4 0FD36DDA
	v_mfma_i32_16x16x32_i8 v[248:251], a[220:221], v[148:149], v[248:251]// 00000000AA58: D3D700F8 0FE329DC
	buffer_load_dwordx4 a[92:95], v45, s[12:15], 0 offen       // 00000000AA60: E05C1000 80835C2D
	s_add_u32 s12, s78, s12                                    // 00000000AA68: 800C0C4E
	s_addc_u32 s13, 0, s13                                     // 00000000AA6C: 820D0D80
	v_mfma_i32_16x16x32_i8 v[248:251], a[222:223], v[150:151], v[248:251]// 00000000AA70: D3D700F8 0FE32DDE
	v_mfma_i32_16x16x32_i8 v[252:255], a[220:221], v[180:181], v[252:255]// 00000000AA78: D3D700FC 0FF369DC
	v_mfma_i32_16x16x32_i8 v[252:255], a[222:223], v[182:183], v[252:255]// 00000000AA80: D3D700FC 0FF36DDE
	s_waitcnt vmcnt(45)                                        // 00000000AA88: BF8C8F7D
	v_mfma_i32_16x16x32_i8 v[224:227], a[224:225], v[152:153], v[224:227]// 00000000AA8C: D3D700E0 0F8331E0
	buffer_load_dwordx4 a[96:99], v42, s[12:15], 0 offen       // 00000000AA94: E05C1000 8083602A
	v_mfma_i32_16x16x32_i8 v[224:227], a[226:227], v[154:155], v[224:227]// 00000000AA9C: D3D700E0 0F8335E2
	v_mfma_i32_16x16x32_i8 v[228:231], a[224:225], v[184:185], v[228:231]// 00000000AAA4: D3D700E4 0F9371E0
	v_mfma_i32_16x16x32_i8 v[228:231], a[226:227], v[186:187], v[228:231]// 00000000AAAC: D3D700E4 0F9375E2
	v_mfma_i32_16x16x32_i8 v[232:235], a[228:229], v[152:153], v[232:235]// 00000000AAB4: D3D700E8 0FA331E4
	buffer_load_dwordx4 a[100:103], v43, s[12:15], 0 offen     // 00000000AABC: E05C1000 8083642B
	v_mfma_i32_16x16x32_i8 v[232:235], a[230:231], v[154:155], v[232:235]// 00000000AAC4: D3D700E8 0FA335E6
	v_mfma_i32_16x16x32_i8 v[236:239], a[228:229], v[184:185], v[236:239]// 00000000AACC: D3D700EC 0FB371E4
	v_mfma_i32_16x16x32_i8 v[236:239], a[230:231], v[186:187], v[236:239]// 00000000AAD4: D3D700EC 0FB375E6
	v_mfma_i32_16x16x32_i8 v[240:243], a[232:233], v[152:153], v[240:243]// 00000000AADC: D3D700F0 0FC331E8
	buffer_load_dwordx4 a[104:107], v44, s[12:15], 0 offen     // 00000000AAE4: E05C1000 8083682C
	v_mfma_i32_16x16x32_i8 v[240:243], a[234:235], v[154:155], v[240:243]// 00000000AAEC: D3D700F0 0FC335EA
	v_mfma_i32_16x16x32_i8 v[244:247], a[232:233], v[184:185], v[244:247]// 00000000AAF4: D3D700F4 0FD371E8
	v_mfma_i32_16x16x32_i8 v[244:247], a[234:235], v[186:187], v[244:247]// 00000000AAFC: D3D700F4 0FD375EA
	v_mfma_i32_16x16x32_i8 v[248:251], a[236:237], v[152:153], v[248:251]// 00000000AB04: D3D700F8 0FE331EC
	buffer_load_dwordx4 a[108:111], v45, s[12:15], 0 offen     // 00000000AB0C: E05C1000 80836C2D
	s_add_u32 s12, s78, s12                                    // 00000000AB14: 800C0C4E
	s_addc_u32 s13, 0, s13                                     // 00000000AB18: 820D0D80
	v_mfma_i32_16x16x32_i8 v[248:251], a[238:239], v[154:155], v[248:251]// 00000000AB1C: D3D700F8 0FE335EE
	v_mfma_i32_16x16x32_i8 v[252:255], a[236:237], v[184:185], v[252:255]// 00000000AB24: D3D700FC 0FF371EC
	v_mfma_i32_16x16x32_i8 v[252:255], a[238:239], v[186:187], v[252:255]// 00000000AB2C: D3D700FC 0FF375EE
	s_waitcnt vmcnt(44)                                        // 00000000AB34: BF8C8F7C
	v_mfma_i32_16x16x32_i8 v[224:227], a[240:241], v[156:157], v[224:227]// 00000000AB38: D3D700E0 0F8339F0
	buffer_load_dwordx4 a[112:115], v42, s[12:15], 0 offen     // 00000000AB40: E05C1000 8083702A
	v_mfma_i32_16x16x32_i8 v[224:227], a[242:243], v[158:159], v[224:227]// 00000000AB48: D3D700E0 0F833DF2
	v_mfma_i32_16x16x32_i8 v[228:231], a[240:241], v[188:189], v[228:231]// 00000000AB50: D3D700E4 0F9379F0
	buffer_load_dword v12, v5, s[16:19], 0 offen               // 00000000AB58: E0501000 80040C05
	v_mfma_i32_16x16x32_i8 v[228:231], a[242:243], v[190:191], v[228:231]// 00000000AB60: D3D700E4 0F937DF2
	v_mfma_i32_16x16x32_i8 v[232:235], a[244:245], v[156:157], v[232:235]// 00000000AB68: D3D700E8 0FA339F4
	buffer_load_dwordx4 a[116:119], v43, s[12:15], 0 offen     // 00000000AB70: E05C1000 8083742B
	v_mfma_i32_16x16x32_i8 v[232:235], a[246:247], v[158:159], v[232:235]// 00000000AB78: D3D700E8 0FA33DF6
	v_mfma_i32_16x16x32_i8 v[236:239], a[244:245], v[188:189], v[236:239]// 00000000AB80: D3D700EC 0FB379F4
	v_mfma_i32_16x16x32_i8 v[236:239], a[246:247], v[190:191], v[236:239]// 00000000AB88: D3D700EC 0FB37DF6
	v_mfma_i32_16x16x32_i8 v[240:243], a[248:249], v[156:157], v[240:243]// 00000000AB90: D3D700F0 0FC339F8
	buffer_load_dwordx4 a[120:123], v44, s[12:15], 0 offen     // 00000000AB98: E05C1000 8083782C
	v_mfma_i32_16x16x32_i8 v[240:243], a[250:251], v[158:159], v[240:243]// 00000000ABA0: D3D700F0 0FC33DFA
	v_mfma_i32_16x16x32_i8 v[244:247], a[248:249], v[188:189], v[244:247]// 00000000ABA8: D3D700F4 0FD379F8
	v_mfma_i32_16x16x32_i8 v[244:247], a[250:251], v[190:191], v[244:247]// 00000000ABB0: D3D700F4 0FD37DFA
	v_mfma_i32_16x16x32_i8 v[248:251], a[252:253], v[156:157], v[248:251]// 00000000ABB8: D3D700F8 0FE339FC
	buffer_load_dwordx4 a[124:127], v45, s[12:15], 0 offen     // 00000000ABC0: E05C1000 80837C2D
	v_mfma_i32_16x16x32_i8 v[248:251], a[254:255], v[158:159], v[248:251]// 00000000ABC8: D3D700F8 0FE33DFE
	v_mfma_i32_16x16x32_i8 v[252:255], a[252:253], v[188:189], v[252:255]// 00000000ABD0: D3D700FC 0FF379FC
	v_mfma_i32_16x16x32_i8 v[252:255], a[254:255], v[190:191], v[252:255]// 00000000ABD8: D3D700FC 0FF37DFE
	s_add_u32 s60, 0x200, s80                                  // 00000000ABE0: 803C50FF 00000200
	s_cmp_lt_u32 s60, s81                                      // 00000000ABE8: BF0A513C
	s_cselect_b32 s56, s56, 0                                  // 00000000ABEC: 85388038
	s_cselect_b32 s78, s78, 0                                  // 00000000ABF0: 854E804E
	s_cselect_b32 s79, s79, 0                                  // 00000000ABF4: 854F804F
	s_add_u32 s12, s56, s12                                    // 00000000ABF8: 800C0C38
	s_addc_u32 s13, 0, s13                                     // 00000000ABFC: 820D0D80
	s_add_u32 s16, s79, s16                                    // 00000000AC00: 8010104F
	s_addc_u32 s17, 0, s17                                     // 00000000AC04: 82111180
	v_cvt_f32_i32_e32 v224, v224                               // 00000000AC08: 7FC00BE0
	v_cvt_f32_i32_e32 v225, v225                               // 00000000AC0C: 7FC20BE1
	v_cvt_f32_i32_e32 v226, v226                               // 00000000AC10: 7FC40BE2
	v_cvt_f32_i32_e32 v227, v227                               // 00000000AC14: 7FC60BE3
	v_mul_f32_e32 v224, v24, v224                              // 00000000AC18: 0BC1C118
	v_mul_f32_e32 v225, v24, v225                              // 00000000AC1C: 0BC3C318
	v_mul_f32_e32 v226, v24, v226                              // 00000000AC20: 0BC5C518
	v_mul_f32_e32 v227, v24, v227                              // 00000000AC24: 0BC7C718
	v_mul_f32_dpp v224, v13, v224 row_newbcast:0 row_mask:0xf bank_mask:0xf// 00000000AC28: 0BC1C0FA FF01500D
	v_mul_f32_dpp v225, v13, v225 row_newbcast:1 row_mask:0xf bank_mask:0xf// 00000000AC30: 0BC3C2FA FF01510D
	v_mul_f32_dpp v226, v13, v226 row_newbcast:2 row_mask:0xf bank_mask:0xf// 00000000AC38: 0BC5C4FA FF01520D
	v_mul_f32_dpp v227, v13, v227 row_newbcast:3 row_mask:0xf bank_mask:0xf// 00000000AC40: 0BC7C6FA FF01530D
	v_mul_f32_e32 v224, v20, v224                              // 00000000AC48: 0BC1C114
	v_mul_f32_e32 v225, v20, v225                              // 00000000AC4C: 0BC3C314
	v_mul_f32_e32 v226, v20, v226                              // 00000000AC50: 0BC5C514
	v_mul_f32_e32 v227, v20, v227                              // 00000000AC54: 0BC7C714
	v_cvt_f32_i32_e32 v228, v228                               // 00000000AC58: 7FC80BE4
	v_cvt_f32_i32_e32 v229, v229                               // 00000000AC5C: 7FCA0BE5
	v_cvt_f32_i32_e32 v230, v230                               // 00000000AC60: 7FCC0BE6
	v_cvt_f32_i32_e32 v231, v231                               // 00000000AC64: 7FCE0BE7
	v_mul_f32_e32 v228, v25, v228                              // 00000000AC68: 0BC9C919
	v_mul_f32_e32 v229, v25, v229                              // 00000000AC6C: 0BCBCB19
	v_mul_f32_e32 v230, v25, v230                              // 00000000AC70: 0BCDCD19
	v_mul_f32_e32 v231, v25, v231                              // 00000000AC74: 0BCFCF19
	v_mul_f32_dpp v228, v13, v228 row_newbcast:0 row_mask:0xf bank_mask:0xf// 00000000AC78: 0BC9C8FA FF01500D
	v_mul_f32_dpp v229, v13, v229 row_newbcast:1 row_mask:0xf bank_mask:0xf// 00000000AC80: 0BCBCAFA FF01510D
	v_mul_f32_dpp v230, v13, v230 row_newbcast:2 row_mask:0xf bank_mask:0xf// 00000000AC88: 0BCDCCFA FF01520D
	v_mul_f32_dpp v231, v13, v231 row_newbcast:3 row_mask:0xf bank_mask:0xf// 00000000AC90: 0BCFCEFA FF01530D
	v_mul_f32_e32 v228, v21, v228                              // 00000000AC98: 0BC9C915
	v_mul_f32_e32 v229, v21, v229                              // 00000000AC9C: 0BCBCB15
	v_mul_f32_e32 v230, v21, v230                              // 00000000ACA0: 0BCDCD15
	v_mul_f32_e32 v231, v21, v231                              // 00000000ACA4: 0BCFCF15
	v_cvt_f32_i32_e32 v232, v232                               // 00000000ACA8: 7FD00BE8
	v_cvt_f32_i32_e32 v233, v233                               // 00000000ACAC: 7FD20BE9
	v_cvt_f32_i32_e32 v234, v234                               // 00000000ACB0: 7FD40BEA
	v_cvt_f32_i32_e32 v235, v235                               // 00000000ACB4: 7FD60BEB
	v_mul_f32_e32 v232, v24, v232                              // 00000000ACB8: 0BD1D118
	v_mul_f32_e32 v233, v24, v233                              // 00000000ACBC: 0BD3D318
	v_mul_f32_e32 v234, v24, v234                              // 00000000ACC0: 0BD5D518
	v_mul_f32_e32 v235, v24, v235                              // 00000000ACC4: 0BD7D718
	v_mul_f32_dpp v232, v13, v232 row_newbcast:4 row_mask:0xf bank_mask:0xf// 00000000ACC8: 0BD1D0FA FF01540D
	v_mul_f32_dpp v233, v13, v233 row_newbcast:5 row_mask:0xf bank_mask:0xf// 00000000ACD0: 0BD3D2FA FF01550D
	v_mul_f32_dpp v234, v13, v234 row_newbcast:6 row_mask:0xf bank_mask:0xf// 00000000ACD8: 0BD5D4FA FF01560D
	v_mul_f32_dpp v235, v13, v235 row_newbcast:7 row_mask:0xf bank_mask:0xf// 00000000ACE0: 0BD7D6FA FF01570D
	v_mul_f32_e32 v232, v20, v232                              // 00000000ACE8: 0BD1D114
	v_mul_f32_e32 v233, v20, v233                              // 00000000ACEC: 0BD3D314
	v_mul_f32_e32 v234, v20, v234                              // 00000000ACF0: 0BD5D514
	v_mul_f32_e32 v235, v20, v235                              // 00000000ACF4: 0BD7D714
	v_cvt_f32_i32_e32 v236, v236                               // 00000000ACF8: 7FD80BEC
	v_cvt_f32_i32_e32 v237, v237                               // 00000000ACFC: 7FDA0BED
	v_cvt_f32_i32_e32 v238, v238                               // 00000000AD00: 7FDC0BEE
	v_cvt_f32_i32_e32 v239, v239                               // 00000000AD04: 7FDE0BEF
	v_mul_f32_e32 v236, v25, v236                              // 00000000AD08: 0BD9D919
	v_mul_f32_e32 v237, v25, v237                              // 00000000AD0C: 0BDBDB19
	v_mul_f32_e32 v238, v25, v238                              // 00000000AD10: 0BDDDD19
	v_mul_f32_e32 v239, v25, v239                              // 00000000AD14: 0BDFDF19
	v_mul_f32_dpp v236, v13, v236 row_newbcast:4 row_mask:0xf bank_mask:0xf// 00000000AD18: 0BD9D8FA FF01540D
	v_mul_f32_dpp v237, v13, v237 row_newbcast:5 row_mask:0xf bank_mask:0xf// 00000000AD20: 0BDBDAFA FF01550D
	v_mul_f32_dpp v238, v13, v238 row_newbcast:6 row_mask:0xf bank_mask:0xf// 00000000AD28: 0BDDDCFA FF01560D
	v_mul_f32_dpp v239, v13, v239 row_newbcast:7 row_mask:0xf bank_mask:0xf// 00000000AD30: 0BDFDEFA FF01570D
	v_mul_f32_e32 v236, v21, v236                              // 00000000AD38: 0BD9D915
	v_mul_f32_e32 v237, v21, v237                              // 00000000AD3C: 0BDBDB15
	v_mul_f32_e32 v238, v21, v238                              // 00000000AD40: 0BDDDD15
	v_mul_f32_e32 v239, v21, v239                              // 00000000AD44: 0BDFDF15
	v_cvt_f32_i32_e32 v240, v240                               // 00000000AD48: 7FE00BF0
	v_cvt_f32_i32_e32 v241, v241                               // 00000000AD4C: 7FE20BF1
	v_cvt_f32_i32_e32 v242, v242                               // 00000000AD50: 7FE40BF2
	v_cvt_f32_i32_e32 v243, v243                               // 00000000AD54: 7FE60BF3
	v_mul_f32_e32 v240, v24, v240                              // 00000000AD58: 0BE1E118
	v_mul_f32_e32 v241, v24, v241                              // 00000000AD5C: 0BE3E318
	v_mul_f32_e32 v242, v24, v242                              // 00000000AD60: 0BE5E518
	v_mul_f32_e32 v243, v24, v243                              // 00000000AD64: 0BE7E718
	v_mul_f32_dpp v240, v13, v240 row_newbcast:8 row_mask:0xf bank_mask:0xf// 00000000AD68: 0BE1E0FA FF01580D
	v_mul_f32_dpp v241, v13, v241 row_newbcast:9 row_mask:0xf bank_mask:0xf// 00000000AD70: 0BE3E2FA FF01590D
	v_mul_f32_dpp v242, v13, v242 row_newbcast:10 row_mask:0xf bank_mask:0xf// 00000000AD78: 0BE5E4FA FF015A0D
	v_mul_f32_dpp v243, v13, v243 row_newbcast:11 row_mask:0xf bank_mask:0xf// 00000000AD80: 0BE7E6FA FF015B0D
	v_mul_f32_e32 v240, v20, v240                              // 00000000AD88: 0BE1E114
	v_mul_f32_e32 v241, v20, v241                              // 00000000AD8C: 0BE3E314
	v_mul_f32_e32 v242, v20, v242                              // 00000000AD90: 0BE5E514
	v_mul_f32_e32 v243, v20, v243                              // 00000000AD94: 0BE7E714
	v_cvt_f32_i32_e32 v244, v244                               // 00000000AD98: 7FE80BF4
	v_cvt_f32_i32_e32 v245, v245                               // 00000000AD9C: 7FEA0BF5
	v_cvt_f32_i32_e32 v246, v246                               // 00000000ADA0: 7FEC0BF6
	v_cvt_f32_i32_e32 v247, v247                               // 00000000ADA4: 7FEE0BF7
	v_mul_f32_e32 v244, v25, v244                              // 00000000ADA8: 0BE9E919
	v_mul_f32_e32 v245, v25, v245                              // 00000000ADAC: 0BEBEB19
	v_mul_f32_e32 v246, v25, v246                              // 00000000ADB0: 0BEDED19
	v_mul_f32_e32 v247, v25, v247                              // 00000000ADB4: 0BEFEF19
	v_mul_f32_dpp v244, v13, v244 row_newbcast:8 row_mask:0xf bank_mask:0xf// 00000000ADB8: 0BE9E8FA FF01580D
	v_mul_f32_dpp v245, v13, v245 row_newbcast:9 row_mask:0xf bank_mask:0xf// 00000000ADC0: 0BEBEAFA FF01590D
	v_mul_f32_dpp v246, v13, v246 row_newbcast:10 row_mask:0xf bank_mask:0xf// 00000000ADC8: 0BEDECFA FF015A0D
	v_mul_f32_dpp v247, v13, v247 row_newbcast:11 row_mask:0xf bank_mask:0xf// 00000000ADD0: 0BEFEEFA FF015B0D
	v_mul_f32_e32 v244, v21, v244                              // 00000000ADD8: 0BE9E915
	v_mul_f32_e32 v245, v21, v245                              // 00000000ADDC: 0BEBEB15
	v_mul_f32_e32 v246, v21, v246                              // 00000000ADE0: 0BEDED15
	v_mul_f32_e32 v247, v21, v247                              // 00000000ADE4: 0BEFEF15
	v_cvt_f32_i32_e32 v248, v248                               // 00000000ADE8: 7FF00BF8
	v_cvt_f32_i32_e32 v249, v249                               // 00000000ADEC: 7FF20BF9
	v_cvt_f32_i32_e32 v250, v250                               // 00000000ADF0: 7FF40BFA
	v_cvt_f32_i32_e32 v251, v251                               // 00000000ADF4: 7FF60BFB
	v_mul_f32_e32 v248, v24, v248                              // 00000000ADF8: 0BF1F118
	v_mul_f32_e32 v249, v24, v249                              // 00000000ADFC: 0BF3F318
	v_mul_f32_e32 v250, v24, v250                              // 00000000AE00: 0BF5F518
	v_mul_f32_e32 v251, v24, v251                              // 00000000AE04: 0BF7F718
	v_mul_f32_dpp v248, v13, v248 row_newbcast:12 row_mask:0xf bank_mask:0xf// 00000000AE08: 0BF1F0FA FF015C0D
	v_mul_f32_dpp v249, v13, v249 row_newbcast:13 row_mask:0xf bank_mask:0xf// 00000000AE10: 0BF3F2FA FF015D0D
	v_mul_f32_dpp v250, v13, v250 row_newbcast:14 row_mask:0xf bank_mask:0xf// 00000000AE18: 0BF5F4FA FF015E0D
	v_mul_f32_dpp v251, v13, v251 row_newbcast:15 row_mask:0xf bank_mask:0xf// 00000000AE20: 0BF7F6FA FF015F0D
	v_mul_f32_e32 v248, v20, v248                              // 00000000AE28: 0BF1F114
	v_mul_f32_e32 v249, v20, v249                              // 00000000AE2C: 0BF3F314
	v_mul_f32_e32 v250, v20, v250                              // 00000000AE30: 0BF5F514
	v_mul_f32_e32 v251, v20, v251                              // 00000000AE34: 0BF7F714
	v_cvt_f32_i32_e32 v252, v252                               // 00000000AE38: 7FF80BFC
	v_cvt_f32_i32_e32 v253, v253                               // 00000000AE3C: 7FFA0BFD
	v_cvt_f32_i32_e32 v254, v254                               // 00000000AE40: 7FFC0BFE
	v_cvt_f32_i32_e32 v255, v255                               // 00000000AE44: 7FFE0BFF
	v_mul_f32_e32 v252, v25, v252                              // 00000000AE48: 0BF9F919
	v_mul_f32_e32 v253, v25, v253                              // 00000000AE4C: 0BFBFB19
	v_mul_f32_e32 v254, v25, v254                              // 00000000AE50: 0BFDFD19
	v_mul_f32_e32 v255, v25, v255                              // 00000000AE54: 0BFFFF19
	v_mul_f32_dpp v252, v13, v252 row_newbcast:12 row_mask:0xf bank_mask:0xf// 00000000AE58: 0BF9F8FA FF015C0D
	v_mul_f32_dpp v253, v13, v253 row_newbcast:13 row_mask:0xf bank_mask:0xf// 00000000AE60: 0BFBFAFA FF015D0D
	v_mul_f32_dpp v254, v13, v254 row_newbcast:14 row_mask:0xf bank_mask:0xf// 00000000AE68: 0BFDFCFA FF015E0D
	v_mul_f32_dpp v255, v13, v255 row_newbcast:15 row_mask:0xf bank_mask:0xf// 00000000AE70: 0BFFFEFA FF015F0D
	v_mul_f32_e32 v252, v21, v252                              // 00000000AE78: 0BF9F915
	v_mul_f32_e32 v253, v21, v253                              // 00000000AE7C: 0BFBFB15
	v_mul_f32_e32 v254, v21, v254                              // 00000000AE80: 0BFDFD15
	v_mul_f32_e32 v255, v21, v255                              // 00000000AE84: 0BFFFF15
	v_cvt_pkrtz_f16_f32 v224, v224, v225                       // 00000000AE88: D29600E0 0003C3E0
	v_cvt_pkrtz_f16_f32 v225, v226, v227                       // 00000000AE90: D29600E1 0003C7E2
	v_cvt_pkrtz_f16_f32 v226, v228, v229                       // 00000000AE98: D29600E2 0003CBE4
	v_cvt_pkrtz_f16_f32 v227, v230, v231                       // 00000000AEA0: D29600E3 0003CFE6
	v_cvt_pkrtz_f16_f32 v228, v232, v233                       // 00000000AEA8: D29600E4 0003D3E8
	v_cvt_pkrtz_f16_f32 v229, v234, v235                       // 00000000AEB0: D29600E5 0003D7EA
	v_cvt_pkrtz_f16_f32 v230, v236, v237                       // 00000000AEB8: D29600E6 0003DBEC
	v_cvt_pkrtz_f16_f32 v231, v238, v239                       // 00000000AEC0: D29600E7 0003DFEE
	v_cvt_pkrtz_f16_f32 v232, v240, v241                       // 00000000AEC8: D29600E8 0003E3F0
	v_cvt_pkrtz_f16_f32 v233, v242, v243                       // 00000000AED0: D29600E9 0003E7F2
	v_cvt_pkrtz_f16_f32 v234, v244, v245                       // 00000000AED8: D29600EA 0003EBF4
	v_cvt_pkrtz_f16_f32 v235, v246, v247                       // 00000000AEE0: D29600EB 0003EFF6
	v_cvt_pkrtz_f16_f32 v236, v248, v249                       // 00000000AEE8: D29600EC 0003F3F8
	v_cvt_pkrtz_f16_f32 v237, v250, v251                       // 00000000AEF0: D29600ED 0003F7FA
	v_cvt_pkrtz_f16_f32 v238, v252, v253                       // 00000000AEF8: D29600EE 0003FBFC
	v_cvt_pkrtz_f16_f32 v239, v254, v255                       // 00000000AF00: D29600EF 0003FFFE
	ds_write_b64 v3, v[224:225] offset:35072                   // 00000000AF08: D89A8900 0000E003
	ds_write_b64 v3, v[226:227] offset:43776                   // 00000000AF10: D89AAB00 0000E203
	ds_write_b64 v3, v[228:229] offset:37248                   // 00000000AF18: D89A9180 0000E403
	ds_write_b64 v3, v[230:231] offset:45952                   // 00000000AF20: D89AB380 0000E603
	ds_write_b64 v3, v[232:233] offset:39424                   // 00000000AF28: D89A9A00 0000E803
	ds_write_b64 v3, v[234:235] offset:48128                   // 00000000AF30: D89ABC00 0000EA03
	ds_write_b64 v3, v[236:237] offset:41600                   // 00000000AF38: D89AA280 0000EC03
	ds_write_b64 v3, v[238:239] offset:50304                   // 00000000AF40: D89AC480 0000EE03
	s_waitcnt lgkmcnt(0)                                       // 00000000AF48: BF8CC07F
	s_barrier                                                  // 00000000AF4C: BF8A0000
	ds_read_b32 v64, v4 offset:35072                           // 00000000AF50: D86C8900 40000004
	ds_read_b32 v65, v4 offset:39424                           // 00000000AF58: D86C9A00 41000004
	ds_read_b32 v66, v4 offset:35104                           // 00000000AF60: D86C8920 42000004
	ds_read_b32 v67, v4 offset:39456                           // 00000000AF68: D86C9A20 43000004
	ds_read_b32 v68, v4 offset:35136                           // 00000000AF70: D86C8940 44000004
	ds_read_b32 v69, v4 offset:39488                           // 00000000AF78: D86C9A40 45000004
	ds_read_b32 v70, v4 offset:35168                           // 00000000AF80: D86C8960 46000004
	ds_read_b32 v71, v4 offset:39520                           // 00000000AF88: D86C9A60 47000004
	ds_read_b32 v72, v4 offset:43776                           // 00000000AF90: D86CAB00 48000004
	ds_read_b32 v73, v4 offset:48128                           // 00000000AF98: D86CBC00 49000004
	ds_read_b32 v74, v4 offset:43808                           // 00000000AFA0: D86CAB20 4A000004
	ds_read_b32 v75, v4 offset:48160                           // 00000000AFA8: D86CBC20 4B000004
	ds_read_b32 v76, v4 offset:43840                           // 00000000AFB0: D86CAB40 4C000004
	ds_read_b32 v77, v4 offset:48192                           // 00000000AFB8: D86CBC40 4D000004
	ds_read_b32 v78, v4 offset:43872                           // 00000000AFC0: D86CAB60 4E000004
	ds_read_b32 v79, v4 offset:48224                           // 00000000AFC8: D86CBC60 4F000004
	s_waitcnt lgkmcnt(0)                                       // 00000000AFD0: BF8CC07F
	s_mov_b64 exec, s[20:21]                                   // 00000000AFD4: BEFE0114
	global_atomic_pk_add_f16 v80, v64, s[8:9]                  // 00000000AFD8: DD388000 00084050
	s_mov_b64 exec, s[36:37]                                   // 00000000AFE0: BEFE0124
	s_mov_b64 exec, s[20:21]                                   // 00000000AFE4: BEFE0114
	global_atomic_pk_add_f16 v80, v65, s[8:9] offset:256       // 00000000AFE8: DD388100 00084150
	s_mov_b64 exec, s[36:37]                                   // 00000000AFF0: BEFE0124
	s_mov_b64 exec, s[22:23]                                   // 00000000AFF4: BEFE0116
	global_atomic_pk_add_f16 v82, v66, s[8:9]                  // 00000000AFF8: DD388000 00084252
	s_mov_b64 exec, s[36:37]                                   // 00000000B000: BEFE0124
	s_mov_b64 exec, s[22:23]                                   // 00000000B004: BEFE0116
	global_atomic_pk_add_f16 v82, v67, s[8:9] offset:256       // 00000000B008: DD388100 00084352
	s_mov_b64 exec, s[36:37]                                   // 00000000B010: BEFE0124
	s_mov_b64 exec, s[24:25]                                   // 00000000B014: BEFE0118
	global_atomic_pk_add_f16 v84, v68, s[8:9]                  // 00000000B018: DD388000 00084454
	s_mov_b64 exec, s[36:37]                                   // 00000000B020: BEFE0124
	s_mov_b64 exec, s[24:25]                                   // 00000000B024: BEFE0118
	global_atomic_pk_add_f16 v84, v69, s[8:9] offset:256       // 00000000B028: DD388100 00084554
	s_mov_b64 exec, s[36:37]                                   // 00000000B030: BEFE0124
	s_mov_b64 exec, s[26:27]                                   // 00000000B034: BEFE011A
	global_atomic_pk_add_f16 v86, v70, s[8:9]                  // 00000000B038: DD388000 00084656
	s_mov_b64 exec, s[36:37]                                   // 00000000B040: BEFE0124
	s_mov_b64 exec, s[26:27]                                   // 00000000B044: BEFE011A
	global_atomic_pk_add_f16 v86, v71, s[8:9] offset:256       // 00000000B048: DD388100 00084756
	s_mov_b64 exec, s[36:37]                                   // 00000000B050: BEFE0124
	s_mov_b64 exec, s[28:29]                                   // 00000000B054: BEFE011C
	global_atomic_pk_add_f16 v88, v72, s[8:9]                  // 00000000B058: DD388000 00084858
	s_mov_b64 exec, s[36:37]                                   // 00000000B060: BEFE0124
	s_mov_b64 exec, s[28:29]                                   // 00000000B064: BEFE011C
	global_atomic_pk_add_f16 v88, v73, s[8:9] offset:256       // 00000000B068: DD388100 00084958
	s_mov_b64 exec, s[36:37]                                   // 00000000B070: BEFE0124
	s_mov_b64 exec, s[30:31]                                   // 00000000B074: BEFE011E
	global_atomic_pk_add_f16 v90, v74, s[8:9]                  // 00000000B078: DD388000 00084A5A
	s_mov_b64 exec, s[36:37]                                   // 00000000B080: BEFE0124
	s_mov_b64 exec, s[30:31]                                   // 00000000B084: BEFE011E
	global_atomic_pk_add_f16 v90, v75, s[8:9] offset:256       // 00000000B088: DD388100 00084B5A
	s_mov_b64 exec, s[36:37]                                   // 00000000B090: BEFE0124
	s_mov_b64 exec, s[32:33]                                   // 00000000B094: BEFE0120
	global_atomic_pk_add_f16 v92, v76, s[8:9]                  // 00000000B098: DD388000 00084C5C
	s_mov_b64 exec, s[36:37]                                   // 00000000B0A0: BEFE0124
	s_mov_b64 exec, s[32:33]                                   // 00000000B0A4: BEFE0120
	global_atomic_pk_add_f16 v92, v77, s[8:9] offset:256       // 00000000B0A8: DD388100 00084D5C
	s_mov_b64 exec, s[36:37]                                   // 00000000B0B0: BEFE0124
	s_mov_b64 exec, s[34:35]                                   // 00000000B0B4: BEFE0122
	global_atomic_pk_add_f16 v94, v78, s[8:9]                  // 00000000B0B8: DD388000 00084E5E
	s_mov_b64 exec, s[36:37]                                   // 00000000B0C0: BEFE0124
	s_mov_b64 exec, s[34:35]                                   // 00000000B0C4: BEFE0122
	global_atomic_pk_add_f16 v94, v79, s[8:9] offset:256       // 00000000B0C8: DD388100 00084F5E
	s_mov_b64 exec, s[36:37]                                   // 00000000B0D0: BEFE0124
	s_add_u32 s8, s59, s8                                      // 00000000B0D4: 8008083B
	s_addc_u32 s9, 0, s9                                       // 00000000B0D8: 82090980
	s_addk_i32 s80, 0x100                                      // 00000000B0DC: B7500100
	s_cmp_lt_i32 s80, s81                                      // 00000000B0E0: BF045150
	s_cbranch_scc0 label_11D7                                  // 00000000B0E4: BF84F11D
	s_branch label_1B84                                        // 00000000B0E8: BF82FAC9

000000000000b0ec <label_20BB>:
	s_waitcnt vmcnt(0) expcnt(0) lgkmcnt(0)                    // 00000000B0EC: BF8C0000
	s_add_u32 s100, s100, 1                                    // 00000000B0F0: 80648164
	s_cmp_eq_u32 s96, 0                                        // 00000000B0F4: BF068060
	s_cbranch_scc0 label_0039                                  // 00000000B0F8: BF84DF7A

000000000000b0fc <label_20BF>:
	s_waitcnt vmcnt(0) expcnt(0) lgkmcnt(0)                    // 00000000B0FC: BF8C0000
	s_endpgm                                                   // 00000000B100: BF810000
